;; amdgpu-corpus repo=ROCm/rccl kind=compiled arch=gfx942 opt=O3
	.text
	.amdgcn_target "amdgcn-amd-amdhsa--gfx942"
	.amdhsa_code_object_version 6
	.p2align	2                               ; -- Begin function __ockl_fprintf_append_string_n
	.type	__ockl_fprintf_append_string_n,@function
__ockl_fprintf_append_string_n:         ; @__ockl_fprintf_append_string_n
; %bb.0:
	s_waitcnt vmcnt(0) expcnt(0) lgkmcnt(0)
	v_mov_b32_e32 v9, v3
	v_mov_b32_e32 v8, v2
	v_or_b32_e32 v2, 2, v0
	v_cmp_eq_u32_e32 vcc, 0, v6
	s_mov_b32 s18, 0
	s_mov_b64 s[2:3], 0
	v_cndmask_b32_e32 v0, v2, v0, vcc
	v_cmp_ne_u64_e32 vcc, 0, v[8:9]
	v_mbcnt_lo_u32_b32 v2, -1, 0
	s_and_saveexec_b64 s[0:1], vcc
	s_xor_b64 s[4:5], exec, s[0:1]
	s_cbranch_execz .LBB0_86
; %bb.1:
	s_load_dwordx2 s[6:7], s[8:9], 0x50
	v_and_b32_e32 v6, 2, v0
	v_mov_b32_e32 v31, 0
	v_and_b32_e32 v0, -3, v0
	v_mbcnt_hi_u32_b32 v32, -1, v2
	s_movk_i32 s19, 0xff1f
	v_mov_b32_e32 v12, 2
	v_mov_b32_e32 v13, 1
	s_branch .LBB0_3
.LBB0_2:                                ;   in Loop: Header=BB0_3 Depth=1
	s_or_b64 exec, exec, s[12:13]
	v_sub_co_u32_e32 v4, vcc, v4, v34
	v_lshl_add_u64 v[8:9], v[8:9], 0, v[34:35]
	s_nop 0
	v_subb_co_u32_e32 v5, vcc, v5, v35, vcc
	v_cmp_eq_u64_e32 vcc, 0, v[4:5]
	s_or_b64 s[2:3], vcc, s[2:3]
	s_andn2_b64 exec, exec, s[2:3]
	s_cbranch_execz .LBB0_85
.LBB0_3:                                ; =>This Loop Header: Depth=1
                                        ;     Child Loop BB0_6 Depth 2
                                        ;     Child Loop BB0_14 Depth 2
	;; [unrolled: 1-line block ×11, first 2 shown]
	v_cmp_gt_u64_e32 vcc, 56, v[4:5]
                                        ; implicit-def: $vgpr2_vgpr3
                                        ; implicit-def: $sgpr10
	s_nop 1
	v_cndmask_b32_e32 v35, 0, v5, vcc
	v_cndmask_b32_e32 v34, 56, v4, vcc
	v_cmp_gt_u64_e32 vcc, 8, v[4:5]
	s_and_saveexec_b64 s[0:1], vcc
	s_xor_b64 s[0:1], exec, s[0:1]
	s_cbranch_execz .LBB0_9
; %bb.4:                                ;   in Loop: Header=BB0_3 Depth=1
	s_mov_b64 s[12:13], 0
	v_cmp_ne_u64_e32 vcc, 0, v[4:5]
	s_waitcnt vmcnt(0)
	v_mov_b64_e32 v[2:3], 0
	s_and_saveexec_b64 s[10:11], vcc
	s_cbranch_execz .LBB0_8
; %bb.5:                                ;   in Loop: Header=BB0_3 Depth=1
	v_lshlrev_b64 v[10:11], 3, v[34:35]
	v_mov_b64_e32 v[2:3], 0
	v_mov_b64_e32 v[14:15], v[8:9]
	s_mov_b64 s[14:15], 0
.LBB0_6:                                ;   Parent Loop BB0_3 Depth=1
                                        ; =>  This Inner Loop Header: Depth=2
	flat_load_ubyte v7, v[14:15]
	v_mov_b32_e32 v17, s18
	v_lshl_add_u64 v[14:15], v[14:15], 0, 1
	s_waitcnt vmcnt(0) lgkmcnt(0)
	v_and_b32_e32 v16, 0xffff, v7
	v_lshlrev_b64 v[16:17], s14, v[16:17]
	s_add_u32 s14, s14, 8
	s_addc_u32 s15, s15, 0
	v_cmp_eq_u32_e32 vcc, s14, v10
	v_or_b32_e32 v3, v17, v3
	s_or_b64 s[12:13], vcc, s[12:13]
	v_or_b32_e32 v2, v16, v2
	s_andn2_b64 exec, exec, s[12:13]
	s_cbranch_execnz .LBB0_6
; %bb.7:                                ;   in Loop: Header=BB0_3 Depth=1
	s_or_b64 exec, exec, s[12:13]
.LBB0_8:                                ;   in Loop: Header=BB0_3 Depth=1
	s_or_b64 exec, exec, s[10:11]
	s_mov_b32 s10, 0
.LBB0_9:                                ;   in Loop: Header=BB0_3 Depth=1
	s_or_saveexec_b64 s[0:1], s[0:1]
	v_mov_b32_e32 v7, s10
	v_mov_b64_e32 v[10:11], v[8:9]
	s_xor_b64 exec, exec, s[0:1]
	s_cbranch_execz .LBB0_11
; %bb.10:                               ;   in Loop: Header=BB0_3 Depth=1
	s_waitcnt vmcnt(0)
	flat_load_dwordx2 v[2:3], v[8:9]
	v_add_u32_e32 v7, -8, v34
	s_waitcnt vmcnt(0) lgkmcnt(0)
	v_and_b32_e32 v10, 0xff, v3
	v_and_b32_e32 v11, 0xff00, v3
	;; [unrolled: 1-line block ×4, first 2 shown]
	v_or_b32_e32 v10, v10, v11
	v_or3_b32 v2, v2, 0, 0
	v_or3_b32 v3, v10, v14, v3
	v_lshl_add_u64 v[10:11], v[8:9], 0, 8
.LBB0_11:                               ;   in Loop: Header=BB0_3 Depth=1
	s_or_b64 exec, exec, s[0:1]
	v_cmp_gt_u32_e32 vcc, 8, v7
                                        ; implicit-def: $vgpr14_vgpr15
                                        ; implicit-def: $sgpr10
	s_and_saveexec_b64 s[0:1], vcc
	s_xor_b64 s[0:1], exec, s[0:1]
	s_cbranch_execz .LBB0_17
; %bb.12:                               ;   in Loop: Header=BB0_3 Depth=1
	v_cmp_ne_u32_e32 vcc, 0, v7
	v_mov_b64_e32 v[14:15], 0
	s_and_saveexec_b64 s[10:11], vcc
	s_cbranch_execz .LBB0_16
; %bb.13:                               ;   in Loop: Header=BB0_3 Depth=1
	s_mov_b64 s[12:13], 0
	v_mov_b64_e32 v[14:15], 0
	s_mov_b64 s[14:15], 0
	s_mov_b64 s[16:17], 0
.LBB0_14:                               ;   Parent Loop BB0_3 Depth=1
                                        ; =>  This Inner Loop Header: Depth=2
	v_lshl_add_u64 v[16:17], v[10:11], 0, s[16:17]
	flat_load_ubyte v16, v[16:17]
	s_add_u32 s16, s16, 1
	v_mov_b32_e32 v17, s18
	s_addc_u32 s17, s17, 0
	v_cmp_eq_u32_e32 vcc, s16, v7
	s_waitcnt vmcnt(0) lgkmcnt(0)
	v_and_b32_e32 v16, 0xffff, v16
	v_lshlrev_b64 v[16:17], s14, v[16:17]
	s_add_u32 s14, s14, 8
	s_addc_u32 s15, s15, 0
	v_or_b32_e32 v15, v17, v15
	s_or_b64 s[12:13], vcc, s[12:13]
	v_or_b32_e32 v14, v16, v14
	s_andn2_b64 exec, exec, s[12:13]
	s_cbranch_execnz .LBB0_14
; %bb.15:                               ;   in Loop: Header=BB0_3 Depth=1
	s_or_b64 exec, exec, s[12:13]
.LBB0_16:                               ;   in Loop: Header=BB0_3 Depth=1
	s_or_b64 exec, exec, s[10:11]
	s_mov_b32 s10, 0
                                        ; implicit-def: $vgpr7
.LBB0_17:                               ;   in Loop: Header=BB0_3 Depth=1
	s_or_saveexec_b64 s[0:1], s[0:1]
	v_mov_b32_e32 v18, s10
	s_xor_b64 exec, exec, s[0:1]
	s_cbranch_execz .LBB0_19
; %bb.18:                               ;   in Loop: Header=BB0_3 Depth=1
	flat_load_dwordx2 v[14:15], v[10:11]
	v_add_u32_e32 v18, -8, v7
	v_lshl_add_u64 v[10:11], v[10:11], 0, 8
	s_waitcnt vmcnt(0) lgkmcnt(0)
	v_and_b32_e32 v7, 0xff, v15
	v_and_b32_e32 v16, 0xff00, v15
	;; [unrolled: 1-line block ×4, first 2 shown]
	v_or_b32_e32 v7, v7, v16
	v_or3_b32 v14, v14, 0, 0
	v_or3_b32 v15, v7, v17, v15
.LBB0_19:                               ;   in Loop: Header=BB0_3 Depth=1
	s_or_b64 exec, exec, s[0:1]
	v_cmp_gt_u32_e32 vcc, 8, v18
                                        ; implicit-def: $sgpr10
	s_and_saveexec_b64 s[0:1], vcc
	s_xor_b64 s[0:1], exec, s[0:1]
	s_cbranch_execz .LBB0_25
; %bb.20:                               ;   in Loop: Header=BB0_3 Depth=1
	v_cmp_ne_u32_e32 vcc, 0, v18
	v_mov_b64_e32 v[16:17], 0
	s_and_saveexec_b64 s[10:11], vcc
	s_cbranch_execz .LBB0_24
; %bb.21:                               ;   in Loop: Header=BB0_3 Depth=1
	s_mov_b64 s[12:13], 0
	v_mov_b64_e32 v[16:17], 0
	s_mov_b64 s[14:15], 0
	s_mov_b64 s[16:17], 0
.LBB0_22:                               ;   Parent Loop BB0_3 Depth=1
                                        ; =>  This Inner Loop Header: Depth=2
	v_lshl_add_u64 v[20:21], v[10:11], 0, s[16:17]
	flat_load_ubyte v7, v[20:21]
	s_add_u32 s16, s16, 1
	v_mov_b32_e32 v21, s18
	s_addc_u32 s17, s17, 0
	v_cmp_eq_u32_e32 vcc, s16, v18
	s_waitcnt vmcnt(0) lgkmcnt(0)
	v_and_b32_e32 v20, 0xffff, v7
	v_lshlrev_b64 v[20:21], s14, v[20:21]
	s_add_u32 s14, s14, 8
	s_addc_u32 s15, s15, 0
	v_or_b32_e32 v17, v21, v17
	s_or_b64 s[12:13], vcc, s[12:13]
	v_or_b32_e32 v16, v20, v16
	s_andn2_b64 exec, exec, s[12:13]
	s_cbranch_execnz .LBB0_22
; %bb.23:                               ;   in Loop: Header=BB0_3 Depth=1
	s_or_b64 exec, exec, s[12:13]
.LBB0_24:                               ;   in Loop: Header=BB0_3 Depth=1
	s_or_b64 exec, exec, s[10:11]
	s_mov_b32 s10, 0
                                        ; implicit-def: $vgpr18
.LBB0_25:                               ;   in Loop: Header=BB0_3 Depth=1
	s_or_saveexec_b64 s[0:1], s[0:1]
	v_mov_b32_e32 v7, s10
	s_xor_b64 exec, exec, s[0:1]
	s_cbranch_execz .LBB0_27
; %bb.26:                               ;   in Loop: Header=BB0_3 Depth=1
	flat_load_dwordx2 v[16:17], v[10:11]
	v_add_u32_e32 v7, -8, v18
	v_lshl_add_u64 v[10:11], v[10:11], 0, 8
	s_waitcnt vmcnt(0) lgkmcnt(0)
	v_and_b32_e32 v18, 0xff, v17
	v_and_b32_e32 v19, 0xff00, v17
	;; [unrolled: 1-line block ×4, first 2 shown]
	v_or_b32_e32 v18, v18, v19
	v_or3_b32 v16, v16, 0, 0
	v_or3_b32 v17, v18, v20, v17
.LBB0_27:                               ;   in Loop: Header=BB0_3 Depth=1
	s_or_b64 exec, exec, s[0:1]
	v_cmp_gt_u32_e32 vcc, 8, v7
                                        ; implicit-def: $vgpr18_vgpr19
                                        ; implicit-def: $sgpr10
	s_and_saveexec_b64 s[0:1], vcc
	s_xor_b64 s[0:1], exec, s[0:1]
	s_cbranch_execz .LBB0_33
; %bb.28:                               ;   in Loop: Header=BB0_3 Depth=1
	v_cmp_ne_u32_e32 vcc, 0, v7
	v_mov_b64_e32 v[18:19], 0
	s_and_saveexec_b64 s[10:11], vcc
	s_cbranch_execz .LBB0_32
; %bb.29:                               ;   in Loop: Header=BB0_3 Depth=1
	s_mov_b64 s[12:13], 0
	v_mov_b64_e32 v[18:19], 0
	s_mov_b64 s[14:15], 0
	s_mov_b64 s[16:17], 0
.LBB0_30:                               ;   Parent Loop BB0_3 Depth=1
                                        ; =>  This Inner Loop Header: Depth=2
	v_lshl_add_u64 v[20:21], v[10:11], 0, s[16:17]
	flat_load_ubyte v20, v[20:21]
	s_add_u32 s16, s16, 1
	v_mov_b32_e32 v21, s18
	s_addc_u32 s17, s17, 0
	v_cmp_eq_u32_e32 vcc, s16, v7
	s_waitcnt vmcnt(0) lgkmcnt(0)
	v_and_b32_e32 v20, 0xffff, v20
	v_lshlrev_b64 v[20:21], s14, v[20:21]
	s_add_u32 s14, s14, 8
	s_addc_u32 s15, s15, 0
	v_or_b32_e32 v19, v21, v19
	s_or_b64 s[12:13], vcc, s[12:13]
	v_or_b32_e32 v18, v20, v18
	s_andn2_b64 exec, exec, s[12:13]
	s_cbranch_execnz .LBB0_30
; %bb.31:                               ;   in Loop: Header=BB0_3 Depth=1
	s_or_b64 exec, exec, s[12:13]
.LBB0_32:                               ;   in Loop: Header=BB0_3 Depth=1
	s_or_b64 exec, exec, s[10:11]
	s_mov_b32 s10, 0
                                        ; implicit-def: $vgpr7
.LBB0_33:                               ;   in Loop: Header=BB0_3 Depth=1
	s_or_saveexec_b64 s[0:1], s[0:1]
	v_mov_b32_e32 v22, s10
	s_xor_b64 exec, exec, s[0:1]
	s_cbranch_execz .LBB0_35
; %bb.34:                               ;   in Loop: Header=BB0_3 Depth=1
	flat_load_dwordx2 v[18:19], v[10:11]
	v_add_u32_e32 v22, -8, v7
	v_lshl_add_u64 v[10:11], v[10:11], 0, 8
	s_waitcnt vmcnt(0) lgkmcnt(0)
	v_and_b32_e32 v7, 0xff, v19
	v_and_b32_e32 v20, 0xff00, v19
	;; [unrolled: 1-line block ×4, first 2 shown]
	v_or_b32_e32 v7, v7, v20
	v_or3_b32 v18, v18, 0, 0
	v_or3_b32 v19, v7, v21, v19
.LBB0_35:                               ;   in Loop: Header=BB0_3 Depth=1
	s_or_b64 exec, exec, s[0:1]
	v_cmp_gt_u32_e32 vcc, 8, v22
                                        ; implicit-def: $sgpr10
	s_and_saveexec_b64 s[0:1], vcc
	s_xor_b64 s[0:1], exec, s[0:1]
	s_cbranch_execz .LBB0_41
; %bb.36:                               ;   in Loop: Header=BB0_3 Depth=1
	v_cmp_ne_u32_e32 vcc, 0, v22
	v_mov_b64_e32 v[20:21], 0
	s_and_saveexec_b64 s[10:11], vcc
	s_cbranch_execz .LBB0_40
; %bb.37:                               ;   in Loop: Header=BB0_3 Depth=1
	s_mov_b64 s[12:13], 0
	v_mov_b64_e32 v[20:21], 0
	s_mov_b64 s[14:15], 0
	s_mov_b64 s[16:17], 0
.LBB0_38:                               ;   Parent Loop BB0_3 Depth=1
                                        ; =>  This Inner Loop Header: Depth=2
	v_lshl_add_u64 v[24:25], v[10:11], 0, s[16:17]
	flat_load_ubyte v7, v[24:25]
	s_add_u32 s16, s16, 1
	v_mov_b32_e32 v25, s18
	s_addc_u32 s17, s17, 0
	v_cmp_eq_u32_e32 vcc, s16, v22
	s_waitcnt vmcnt(0) lgkmcnt(0)
	v_and_b32_e32 v24, 0xffff, v7
	v_lshlrev_b64 v[24:25], s14, v[24:25]
	s_add_u32 s14, s14, 8
	s_addc_u32 s15, s15, 0
	v_or_b32_e32 v21, v25, v21
	s_or_b64 s[12:13], vcc, s[12:13]
	v_or_b32_e32 v20, v24, v20
	s_andn2_b64 exec, exec, s[12:13]
	s_cbranch_execnz .LBB0_38
; %bb.39:                               ;   in Loop: Header=BB0_3 Depth=1
	s_or_b64 exec, exec, s[12:13]
.LBB0_40:                               ;   in Loop: Header=BB0_3 Depth=1
	s_or_b64 exec, exec, s[10:11]
	s_mov_b32 s10, 0
                                        ; implicit-def: $vgpr22
.LBB0_41:                               ;   in Loop: Header=BB0_3 Depth=1
	s_or_saveexec_b64 s[0:1], s[0:1]
	v_mov_b32_e32 v7, s10
	s_xor_b64 exec, exec, s[0:1]
	s_cbranch_execz .LBB0_43
; %bb.42:                               ;   in Loop: Header=BB0_3 Depth=1
	flat_load_dwordx2 v[20:21], v[10:11]
	v_add_u32_e32 v7, -8, v22
	v_lshl_add_u64 v[10:11], v[10:11], 0, 8
	s_waitcnt vmcnt(0) lgkmcnt(0)
	v_and_b32_e32 v22, 0xff, v21
	v_and_b32_e32 v23, 0xff00, v21
	;; [unrolled: 1-line block ×4, first 2 shown]
	v_or_b32_e32 v22, v22, v23
	v_or3_b32 v20, v20, 0, 0
	v_or3_b32 v21, v22, v24, v21
.LBB0_43:                               ;   in Loop: Header=BB0_3 Depth=1
	s_or_b64 exec, exec, s[0:1]
	v_cmp_gt_u32_e32 vcc, 8, v7
                                        ; implicit-def: $vgpr22_vgpr23
                                        ; implicit-def: $sgpr10
	s_and_saveexec_b64 s[0:1], vcc
	s_xor_b64 s[0:1], exec, s[0:1]
	s_cbranch_execz .LBB0_49
; %bb.44:                               ;   in Loop: Header=BB0_3 Depth=1
	v_cmp_ne_u32_e32 vcc, 0, v7
	v_mov_b64_e32 v[22:23], 0
	s_and_saveexec_b64 s[10:11], vcc
	s_cbranch_execz .LBB0_48
; %bb.45:                               ;   in Loop: Header=BB0_3 Depth=1
	s_mov_b64 s[12:13], 0
	v_mov_b64_e32 v[22:23], 0
	s_mov_b64 s[14:15], 0
	s_mov_b64 s[16:17], 0
.LBB0_46:                               ;   Parent Loop BB0_3 Depth=1
                                        ; =>  This Inner Loop Header: Depth=2
	v_lshl_add_u64 v[24:25], v[10:11], 0, s[16:17]
	flat_load_ubyte v24, v[24:25]
	s_add_u32 s16, s16, 1
	v_mov_b32_e32 v25, s18
	s_addc_u32 s17, s17, 0
	v_cmp_eq_u32_e32 vcc, s16, v7
	s_waitcnt vmcnt(0) lgkmcnt(0)
	v_and_b32_e32 v24, 0xffff, v24
	v_lshlrev_b64 v[24:25], s14, v[24:25]
	s_add_u32 s14, s14, 8
	s_addc_u32 s15, s15, 0
	v_or_b32_e32 v23, v25, v23
	s_or_b64 s[12:13], vcc, s[12:13]
	v_or_b32_e32 v22, v24, v22
	s_andn2_b64 exec, exec, s[12:13]
	s_cbranch_execnz .LBB0_46
; %bb.47:                               ;   in Loop: Header=BB0_3 Depth=1
	s_or_b64 exec, exec, s[12:13]
.LBB0_48:                               ;   in Loop: Header=BB0_3 Depth=1
	s_or_b64 exec, exec, s[10:11]
	s_mov_b32 s10, 0
                                        ; implicit-def: $vgpr7
.LBB0_49:                               ;   in Loop: Header=BB0_3 Depth=1
	s_or_saveexec_b64 s[0:1], s[0:1]
	v_mov_b32_e32 v26, s10
	s_xor_b64 exec, exec, s[0:1]
	s_cbranch_execz .LBB0_51
; %bb.50:                               ;   in Loop: Header=BB0_3 Depth=1
	flat_load_dwordx2 v[22:23], v[10:11]
	v_add_u32_e32 v26, -8, v7
	v_lshl_add_u64 v[10:11], v[10:11], 0, 8
	s_waitcnt vmcnt(0) lgkmcnt(0)
	v_and_b32_e32 v7, 0xff, v23
	v_and_b32_e32 v24, 0xff00, v23
	;; [unrolled: 1-line block ×4, first 2 shown]
	v_or_b32_e32 v7, v7, v24
	v_or3_b32 v22, v22, 0, 0
	v_or3_b32 v23, v7, v25, v23
.LBB0_51:                               ;   in Loop: Header=BB0_3 Depth=1
	s_or_b64 exec, exec, s[0:1]
	v_cmp_gt_u32_e32 vcc, 8, v26
	s_and_saveexec_b64 s[0:1], vcc
	s_xor_b64 s[0:1], exec, s[0:1]
	s_cbranch_execz .LBB0_57
; %bb.52:                               ;   in Loop: Header=BB0_3 Depth=1
	v_cmp_ne_u32_e32 vcc, 0, v26
	v_mov_b64_e32 v[24:25], 0
	s_and_saveexec_b64 s[10:11], vcc
	s_cbranch_execz .LBB0_56
; %bb.53:                               ;   in Loop: Header=BB0_3 Depth=1
	s_mov_b64 s[12:13], 0
	v_mov_b64_e32 v[24:25], 0
	s_mov_b64 s[14:15], 0
.LBB0_54:                               ;   Parent Loop BB0_3 Depth=1
                                        ; =>  This Inner Loop Header: Depth=2
	flat_load_ubyte v7, v[10:11]
	v_mov_b32_e32 v29, s18
	v_add_u32_e32 v26, -1, v26
	v_cmp_eq_u32_e32 vcc, 0, v26
	v_lshl_add_u64 v[10:11], v[10:11], 0, 1
	s_waitcnt vmcnt(0) lgkmcnt(0)
	v_and_b32_e32 v28, 0xffff, v7
	v_lshlrev_b64 v[28:29], s14, v[28:29]
	s_add_u32 s14, s14, 8
	s_addc_u32 s15, s15, 0
	v_or_b32_e32 v25, v29, v25
	s_or_b64 s[12:13], vcc, s[12:13]
	v_or_b32_e32 v24, v28, v24
	s_andn2_b64 exec, exec, s[12:13]
	s_cbranch_execnz .LBB0_54
; %bb.55:                               ;   in Loop: Header=BB0_3 Depth=1
	s_or_b64 exec, exec, s[12:13]
.LBB0_56:                               ;   in Loop: Header=BB0_3 Depth=1
	s_or_b64 exec, exec, s[10:11]
                                        ; implicit-def: $vgpr10_vgpr11
.LBB0_57:                               ;   in Loop: Header=BB0_3 Depth=1
	s_andn2_saveexec_b64 s[0:1], s[0:1]
	s_cbranch_execz .LBB0_59
; %bb.58:                               ;   in Loop: Header=BB0_3 Depth=1
	flat_load_dwordx2 v[10:11], v[10:11]
	s_waitcnt vmcnt(0) lgkmcnt(0)
	v_and_b32_e32 v7, 0xff, v11
	v_and_b32_e32 v24, 0xff00, v11
	v_and_b32_e32 v25, 0xff0000, v11
	v_and_b32_e32 v11, 0xff000000, v11
	v_or_b32_e32 v7, v7, v24
	v_or3_b32 v25, v7, v25, v11
	v_or3_b32 v24, v10, 0, 0
.LBB0_59:                               ;   in Loop: Header=BB0_3 Depth=1
	s_or_b64 exec, exec, s[0:1]
	v_readfirstlane_b32 s0, v32
	v_mov_b64_e32 v[10:11], 0
	s_nop 0
	v_cmp_eq_u32_e64 s[0:1], s0, v32
	s_and_saveexec_b64 s[10:11], s[0:1]
	s_cbranch_execz .LBB0_65
; %bb.60:                               ;   in Loop: Header=BB0_3 Depth=1
	s_waitcnt lgkmcnt(0)
	global_load_dwordx2 v[28:29], v31, s[6:7] offset:24 sc0 sc1
	s_waitcnt vmcnt(0)
	buffer_inv sc0 sc1
	global_load_dwordx2 v[10:11], v31, s[6:7] offset:40
	global_load_dwordx2 v[26:27], v31, s[6:7]
	s_waitcnt vmcnt(1)
	v_and_b32_e32 v7, v10, v28
	v_and_b32_e32 v10, v11, v29
	v_mul_lo_u32 v10, v10, 24
	v_mul_hi_u32 v11, v7, 24
	v_add_u32_e32 v11, v11, v10
	v_mul_lo_u32 v10, v7, 24
	s_waitcnt vmcnt(0)
	v_lshl_add_u64 v[10:11], v[26:27], 0, v[10:11]
	global_load_dwordx2 v[26:27], v[10:11], off sc0 sc1
	s_waitcnt vmcnt(0)
	global_atomic_cmpswap_x2 v[10:11], v31, v[26:29], s[6:7] offset:24 sc0 sc1
	s_waitcnt vmcnt(0)
	buffer_inv sc0 sc1
	v_cmp_ne_u64_e32 vcc, v[10:11], v[28:29]
	s_and_saveexec_b64 s[12:13], vcc
	s_cbranch_execz .LBB0_64
; %bb.61:                               ;   in Loop: Header=BB0_3 Depth=1
	s_mov_b64 s[14:15], 0
.LBB0_62:                               ;   Parent Loop BB0_3 Depth=1
                                        ; =>  This Inner Loop Header: Depth=2
	s_sleep 1
	global_load_dwordx2 v[26:27], v31, s[6:7] offset:40
	global_load_dwordx2 v[36:37], v31, s[6:7]
	v_mov_b64_e32 v[28:29], v[10:11]
	s_waitcnt vmcnt(1)
	v_and_b32_e32 v10, v26, v28
	s_waitcnt vmcnt(0)
	v_mad_u64_u32 v[10:11], s[16:17], v10, 24, v[36:37]
	v_and_b32_e32 v7, v27, v29
	v_mov_b32_e32 v26, v11
	v_mad_u64_u32 v[26:27], s[16:17], v7, 24, v[26:27]
	v_mov_b32_e32 v11, v26
	global_load_dwordx2 v[26:27], v[10:11], off sc0 sc1
	s_waitcnt vmcnt(0)
	global_atomic_cmpswap_x2 v[10:11], v31, v[26:29], s[6:7] offset:24 sc0 sc1
	s_waitcnt vmcnt(0)
	buffer_inv sc0 sc1
	v_cmp_eq_u64_e32 vcc, v[10:11], v[28:29]
	s_or_b64 s[14:15], vcc, s[14:15]
	s_andn2_b64 exec, exec, s[14:15]
	s_cbranch_execnz .LBB0_62
; %bb.63:                               ;   in Loop: Header=BB0_3 Depth=1
	s_or_b64 exec, exec, s[14:15]
.LBB0_64:                               ;   in Loop: Header=BB0_3 Depth=1
	s_or_b64 exec, exec, s[12:13]
.LBB0_65:                               ;   in Loop: Header=BB0_3 Depth=1
	s_or_b64 exec, exec, s[10:11]
	s_waitcnt lgkmcnt(0)
	global_load_dwordx2 v[36:37], v31, s[6:7] offset:40
	global_load_dwordx4 v[26:29], v31, s[6:7]
	v_readfirstlane_b32 s10, v10
	v_readfirstlane_b32 s11, v11
	s_mov_b64 s[12:13], exec
	s_waitcnt vmcnt(1)
	v_readfirstlane_b32 s14, v36
	v_readfirstlane_b32 s15, v37
	s_and_b64 s[14:15], s[10:11], s[14:15]
	s_mul_i32 s16, s15, 24
	s_mul_hi_u32 s17, s14, 24
	s_add_i32 s17, s17, s16
	s_mul_i32 s16, s14, 24
	s_waitcnt vmcnt(0)
	v_lshl_add_u64 v[36:37], v[26:27], 0, s[16:17]
	s_and_saveexec_b64 s[16:17], s[0:1]
	s_cbranch_execz .LBB0_67
; %bb.66:                               ;   in Loop: Header=BB0_3 Depth=1
	v_mov_b64_e32 v[10:11], s[12:13]
	global_store_dwordx4 v[36:37], v[10:13], off offset:8
.LBB0_67:                               ;   in Loop: Header=BB0_3 Depth=1
	s_or_b64 exec, exec, s[16:17]
	s_lshl_b64 s[12:13], s[14:15], 12
	v_or_b32_e32 v7, 0, v1
	v_cmp_lt_u64_e32 vcc, 56, v[4:5]
	v_lshl_add_u64 v[10:11], v[28:29], 0, s[12:13]
	v_or_b32_e32 v28, v0, v6
	v_cndmask_b32_e32 v1, v7, v1, vcc
	v_lshl_add_u32 v7, v34, 2, 28
	v_cndmask_b32_e32 v0, v28, v0, vcc
	v_and_b32_e32 v7, 0x1e0, v7
	v_and_or_b32 v0, v0, s19, v7
	v_lshlrev_b32_e32 v30, 6, v32
	v_readfirstlane_b32 s12, v10
	v_readfirstlane_b32 s13, v11
	s_nop 4
	global_store_dwordx4 v30, v[0:3], s[12:13]
	global_store_dwordx4 v30, v[14:17], s[12:13] offset:16
	global_store_dwordx4 v30, v[18:21], s[12:13] offset:32
	;; [unrolled: 1-line block ×3, first 2 shown]
	s_and_saveexec_b64 s[12:13], s[0:1]
	s_cbranch_execz .LBB0_75
; %bb.68:                               ;   in Loop: Header=BB0_3 Depth=1
	global_load_dwordx2 v[18:19], v31, s[6:7] offset:32 sc0 sc1
	global_load_dwordx2 v[0:1], v31, s[6:7] offset:40
	v_mov_b32_e32 v16, s10
	v_mov_b32_e32 v17, s11
	s_waitcnt vmcnt(0)
	v_readfirstlane_b32 s14, v0
	v_readfirstlane_b32 s15, v1
	s_and_b64 s[14:15], s[14:15], s[10:11]
	s_mul_i32 s15, s15, 24
	s_mul_hi_u32 s16, s14, 24
	s_mul_i32 s14, s14, 24
	s_add_i32 s15, s16, s15
	v_lshl_add_u64 v[14:15], v[26:27], 0, s[14:15]
	global_store_dwordx2 v[14:15], v[18:19], off
	buffer_wbl2 sc0 sc1
	s_waitcnt vmcnt(0)
	global_atomic_cmpswap_x2 v[2:3], v31, v[16:19], s[6:7] offset:32 sc0 sc1
	s_waitcnt vmcnt(0)
	v_cmp_ne_u64_e32 vcc, v[2:3], v[18:19]
	s_and_saveexec_b64 s[14:15], vcc
	s_cbranch_execz .LBB0_71
; %bb.69:                               ;   in Loop: Header=BB0_3 Depth=1
	s_mov_b64 s[16:17], 0
.LBB0_70:                               ;   Parent Loop BB0_3 Depth=1
                                        ; =>  This Inner Loop Header: Depth=2
	s_sleep 1
	global_store_dwordx2 v[14:15], v[2:3], off
	v_mov_b32_e32 v0, s10
	v_mov_b32_e32 v1, s11
	buffer_wbl2 sc0 sc1
	s_waitcnt vmcnt(0)
	global_atomic_cmpswap_x2 v[0:1], v31, v[0:3], s[6:7] offset:32 sc0 sc1
	s_waitcnt vmcnt(0)
	v_cmp_eq_u64_e32 vcc, v[0:1], v[2:3]
	s_or_b64 s[16:17], vcc, s[16:17]
	v_mov_b64_e32 v[2:3], v[0:1]
	s_andn2_b64 exec, exec, s[16:17]
	s_cbranch_execnz .LBB0_70
.LBB0_71:                               ;   in Loop: Header=BB0_3 Depth=1
	s_or_b64 exec, exec, s[14:15]
	global_load_dwordx2 v[0:1], v31, s[6:7] offset:16
	s_mov_b64 s[16:17], exec
	v_mbcnt_lo_u32_b32 v2, s16, 0
	v_mbcnt_hi_u32_b32 v2, s17, v2
	v_cmp_eq_u32_e32 vcc, 0, v2
	s_and_saveexec_b64 s[14:15], vcc
	s_cbranch_execz .LBB0_73
; %bb.72:                               ;   in Loop: Header=BB0_3 Depth=1
	s_bcnt1_i32_b64 s16, s[16:17]
	v_mov_b32_e32 v2, s16
	v_mov_b32_e32 v3, v31
	buffer_wbl2 sc0 sc1
	s_waitcnt vmcnt(0)
	global_atomic_add_x2 v[0:1], v[2:3], off offset:8 sc1
.LBB0_73:                               ;   in Loop: Header=BB0_3 Depth=1
	s_or_b64 exec, exec, s[14:15]
	s_waitcnt vmcnt(0)
	global_load_dwordx2 v[2:3], v[0:1], off offset:16
	s_waitcnt vmcnt(0)
	v_cmp_eq_u64_e32 vcc, 0, v[2:3]
	s_cbranch_vccnz .LBB0_75
; %bb.74:                               ;   in Loop: Header=BB0_3 Depth=1
	global_load_dword v0, v[0:1], off offset:24
	v_mov_b32_e32 v1, v31
	buffer_wbl2 sc0 sc1
	s_waitcnt vmcnt(0)
	global_store_dwordx2 v[2:3], v[0:1], off sc0 sc1
	v_and_b32_e32 v0, 0xffffff, v0
	s_nop 0
	v_readfirstlane_b32 m0, v0
	s_sendmsg sendmsg(MSG_INTERRUPT)
.LBB0_75:                               ;   in Loop: Header=BB0_3 Depth=1
	s_or_b64 exec, exec, s[12:13]
	v_lshl_add_u64 v[0:1], v[10:11], 0, v[30:31]
	s_branch .LBB0_79
.LBB0_76:                               ;   in Loop: Header=BB0_79 Depth=2
	s_or_b64 exec, exec, s[12:13]
	v_readfirstlane_b32 s12, v2
	s_cmp_eq_u32 s12, 0
	s_cbranch_scc1 .LBB0_78
; %bb.77:                               ;   in Loop: Header=BB0_79 Depth=2
	s_sleep 1
	s_cbranch_execnz .LBB0_79
	s_branch .LBB0_81
.LBB0_78:                               ;   in Loop: Header=BB0_3 Depth=1
	s_branch .LBB0_81
.LBB0_79:                               ;   Parent Loop BB0_3 Depth=1
                                        ; =>  This Inner Loop Header: Depth=2
	v_mov_b32_e32 v2, 1
	s_and_saveexec_b64 s[12:13], s[0:1]
	s_cbranch_execz .LBB0_76
; %bb.80:                               ;   in Loop: Header=BB0_79 Depth=2
	global_load_dword v2, v[36:37], off offset:20 sc0 sc1
	s_waitcnt vmcnt(0)
	buffer_inv sc0 sc1
	v_and_b32_e32 v2, 1, v2
	s_branch .LBB0_76
.LBB0_81:                               ;   in Loop: Header=BB0_3 Depth=1
	global_load_dwordx4 v[0:3], v[0:1], off
	s_and_saveexec_b64 s[12:13], s[0:1]
	s_cbranch_execz .LBB0_2
; %bb.82:                               ;   in Loop: Header=BB0_3 Depth=1
	global_load_dwordx2 v[2:3], v31, s[6:7] offset:40
	global_load_dwordx2 v[10:11], v31, s[6:7] offset:24 sc0 sc1
	global_load_dwordx2 v[18:19], v31, s[6:7]
	s_waitcnt vmcnt(2)
	v_lshl_add_u64 v[14:15], v[2:3], 0, 1
	v_lshl_add_u64 v[20:21], v[14:15], 0, s[10:11]
	v_cmp_eq_u64_e32 vcc, 0, v[20:21]
	s_waitcnt vmcnt(1)
	v_mov_b32_e32 v16, v10
	v_mov_b32_e32 v17, v11
	v_cndmask_b32_e32 v15, v21, v15, vcc
	v_cndmask_b32_e32 v14, v20, v14, vcc
	v_and_b32_e32 v3, v15, v3
	v_and_b32_e32 v2, v14, v2
	v_mul_lo_u32 v3, v3, 24
	v_mul_hi_u32 v7, v2, 24
	v_mul_lo_u32 v2, v2, 24
	v_add_u32_e32 v3, v7, v3
	s_waitcnt vmcnt(0)
	v_lshl_add_u64 v[2:3], v[18:19], 0, v[2:3]
	global_store_dwordx2 v[2:3], v[10:11], off
	buffer_wbl2 sc0 sc1
	s_waitcnt vmcnt(0)
	global_atomic_cmpswap_x2 v[16:17], v31, v[14:17], s[6:7] offset:24 sc0 sc1
	s_waitcnt vmcnt(0)
	v_cmp_ne_u64_e32 vcc, v[16:17], v[10:11]
	s_and_b64 exec, exec, vcc
	s_cbranch_execz .LBB0_2
; %bb.83:                               ;   in Loop: Header=BB0_3 Depth=1
	s_mov_b64 s[0:1], 0
.LBB0_84:                               ;   Parent Loop BB0_3 Depth=1
                                        ; =>  This Inner Loop Header: Depth=2
	s_sleep 1
	global_store_dwordx2 v[2:3], v[16:17], off
	buffer_wbl2 sc0 sc1
	s_waitcnt vmcnt(0)
	global_atomic_cmpswap_x2 v[10:11], v31, v[14:17], s[6:7] offset:24 sc0 sc1
	s_waitcnt vmcnt(0)
	v_cmp_eq_u64_e32 vcc, v[10:11], v[16:17]
	s_or_b64 s[0:1], vcc, s[0:1]
	v_mov_b64_e32 v[16:17], v[10:11]
	s_andn2_b64 exec, exec, s[0:1]
	s_cbranch_execnz .LBB0_84
	s_branch .LBB0_2
.LBB0_85:
	s_or_b64 exec, exec, s[2:3]
                                        ; implicit-def: $vgpr0
                                        ; implicit-def: $vgpr1
                                        ; implicit-def: $vgpr2
.LBB0_86:
	s_andn2_saveexec_b64 s[2:3], s[4:5]
	s_cbranch_execz .LBB0_109
; %bb.87:
	s_load_dwordx2 s[4:5], s[8:9], 0x50
	s_waitcnt vmcnt(0)
	v_mbcnt_hi_u32_b32 v3, -1, v2
	v_mov_b64_e32 v[8:9], 0
	v_readfirstlane_b32 s0, v3
	s_nop 1
	v_cmp_eq_u32_e64 s[0:1], s0, v3
	s_and_saveexec_b64 s[6:7], s[0:1]
	s_cbranch_execz .LBB0_93
; %bb.88:
	v_mov_b32_e32 v2, 0
	s_waitcnt lgkmcnt(0)
	global_load_dwordx2 v[6:7], v2, s[4:5] offset:24 sc0 sc1
	s_waitcnt vmcnt(0)
	buffer_inv sc0 sc1
	global_load_dwordx2 v[4:5], v2, s[4:5] offset:40
	global_load_dwordx2 v[8:9], v2, s[4:5]
	s_waitcnt vmcnt(1)
	v_and_b32_e32 v4, v4, v6
	v_and_b32_e32 v5, v5, v7
	v_mul_lo_u32 v5, v5, 24
	v_mul_hi_u32 v10, v4, 24
	v_add_u32_e32 v5, v10, v5
	v_mul_lo_u32 v4, v4, 24
	s_waitcnt vmcnt(0)
	v_lshl_add_u64 v[4:5], v[8:9], 0, v[4:5]
	global_load_dwordx2 v[4:5], v[4:5], off sc0 sc1
	s_waitcnt vmcnt(0)
	global_atomic_cmpswap_x2 v[8:9], v2, v[4:7], s[4:5] offset:24 sc0 sc1
	s_waitcnt vmcnt(0)
	buffer_inv sc0 sc1
	v_cmp_ne_u64_e32 vcc, v[8:9], v[6:7]
	s_and_saveexec_b64 s[8:9], vcc
	s_cbranch_execz .LBB0_92
; %bb.89:
	s_mov_b64 s[10:11], 0
.LBB0_90:                               ; =>This Inner Loop Header: Depth=1
	s_sleep 1
	global_load_dwordx2 v[4:5], v2, s[4:5] offset:40
	global_load_dwordx2 v[10:11], v2, s[4:5]
	v_mov_b64_e32 v[6:7], v[8:9]
	s_waitcnt vmcnt(1)
	v_and_b32_e32 v4, v4, v6
	v_and_b32_e32 v9, v5, v7
	s_waitcnt vmcnt(0)
	v_mad_u64_u32 v[4:5], s[12:13], v4, 24, v[10:11]
	v_mov_b32_e32 v8, v5
	v_mad_u64_u32 v[8:9], s[12:13], v9, 24, v[8:9]
	v_mov_b32_e32 v5, v8
	global_load_dwordx2 v[4:5], v[4:5], off sc0 sc1
	s_waitcnt vmcnt(0)
	global_atomic_cmpswap_x2 v[8:9], v2, v[4:7], s[4:5] offset:24 sc0 sc1
	s_waitcnt vmcnt(0)
	buffer_inv sc0 sc1
	v_cmp_eq_u64_e32 vcc, v[8:9], v[6:7]
	s_or_b64 s[10:11], vcc, s[10:11]
	s_andn2_b64 exec, exec, s[10:11]
	s_cbranch_execnz .LBB0_90
; %bb.91:
	s_or_b64 exec, exec, s[10:11]
.LBB0_92:
	s_or_b64 exec, exec, s[8:9]
.LBB0_93:
	s_or_b64 exec, exec, s[6:7]
	v_mov_b32_e32 v2, 0
	s_waitcnt lgkmcnt(0)
	global_load_dwordx2 v[10:11], v2, s[4:5] offset:40
	global_load_dwordx4 v[4:7], v2, s[4:5]
	v_readfirstlane_b32 s6, v8
	v_readfirstlane_b32 s7, v9
	s_mov_b64 s[8:9], exec
	s_waitcnt vmcnt(1)
	v_readfirstlane_b32 s10, v10
	v_readfirstlane_b32 s11, v11
	s_and_b64 s[10:11], s[6:7], s[10:11]
	s_mul_i32 s12, s11, 24
	s_mul_hi_u32 s13, s10, 24
	s_add_i32 s13, s13, s12
	s_mul_i32 s12, s10, 24
	s_waitcnt vmcnt(0)
	v_lshl_add_u64 v[8:9], v[4:5], 0, s[12:13]
	s_and_saveexec_b64 s[12:13], s[0:1]
	s_cbranch_execz .LBB0_95
; %bb.94:
	v_mov_b64_e32 v[10:11], s[8:9]
	v_mov_b32_e32 v12, 2
	v_mov_b32_e32 v13, 1
	global_store_dwordx4 v[8:9], v[10:13], off offset:8
.LBB0_95:
	s_or_b64 exec, exec, s[12:13]
	s_lshl_b64 s[8:9], s[10:11], 12
	v_lshl_add_u64 v[6:7], v[6:7], 0, s[8:9]
	s_movk_i32 s8, 0xff1f
	v_and_or_b32 v0, v0, s8, 32
	s_mov_b32 s8, 0
	v_lshlrev_b32_e32 v10, 6, v3
	v_mov_b32_e32 v3, v2
	v_readfirstlane_b32 s12, v6
	v_readfirstlane_b32 s13, v7
	s_mov_b32 s9, s8
	s_mov_b32 s10, s8
	s_mov_b32 s11, s8
	s_nop 1
	global_store_dwordx4 v10, v[0:3], s[12:13]
	s_nop 1
	v_mov_b64_e32 v[0:1], s[8:9]
	v_mov_b64_e32 v[2:3], s[10:11]
	global_store_dwordx4 v10, v[0:3], s[12:13] offset:16
	global_store_dwordx4 v10, v[0:3], s[12:13] offset:32
	;; [unrolled: 1-line block ×3, first 2 shown]
	s_and_saveexec_b64 s[8:9], s[0:1]
	s_cbranch_execz .LBB0_103
; %bb.96:
	v_mov_b32_e32 v6, 0
	global_load_dwordx2 v[12:13], v6, s[4:5] offset:32 sc0 sc1
	global_load_dwordx2 v[0:1], v6, s[4:5] offset:40
	v_mov_b32_e32 v10, s6
	v_mov_b32_e32 v11, s7
	s_waitcnt vmcnt(0)
	v_and_b32_e32 v0, s6, v0
	v_and_b32_e32 v1, s7, v1
	v_mul_lo_u32 v1, v1, 24
	v_mul_hi_u32 v2, v0, 24
	v_mul_lo_u32 v0, v0, 24
	v_add_u32_e32 v1, v2, v1
	v_lshl_add_u64 v[4:5], v[4:5], 0, v[0:1]
	global_store_dwordx2 v[4:5], v[12:13], off
	buffer_wbl2 sc0 sc1
	s_waitcnt vmcnt(0)
	global_atomic_cmpswap_x2 v[2:3], v6, v[10:13], s[4:5] offset:32 sc0 sc1
	s_waitcnt vmcnt(0)
	v_cmp_ne_u64_e32 vcc, v[2:3], v[12:13]
	s_and_saveexec_b64 s[10:11], vcc
	s_cbranch_execz .LBB0_99
; %bb.97:
	s_mov_b64 s[12:13], 0
.LBB0_98:                               ; =>This Inner Loop Header: Depth=1
	s_sleep 1
	global_store_dwordx2 v[4:5], v[2:3], off
	v_mov_b32_e32 v0, s6
	v_mov_b32_e32 v1, s7
	buffer_wbl2 sc0 sc1
	s_waitcnt vmcnt(0)
	global_atomic_cmpswap_x2 v[0:1], v6, v[0:3], s[4:5] offset:32 sc0 sc1
	s_waitcnt vmcnt(0)
	v_cmp_eq_u64_e32 vcc, v[0:1], v[2:3]
	s_or_b64 s[12:13], vcc, s[12:13]
	v_mov_b64_e32 v[2:3], v[0:1]
	s_andn2_b64 exec, exec, s[12:13]
	s_cbranch_execnz .LBB0_98
.LBB0_99:
	s_or_b64 exec, exec, s[10:11]
	v_mov_b32_e32 v3, 0
	global_load_dwordx2 v[0:1], v3, s[4:5] offset:16
	s_mov_b64 s[10:11], exec
	v_mbcnt_lo_u32_b32 v2, s10, 0
	v_mbcnt_hi_u32_b32 v2, s11, v2
	v_cmp_eq_u32_e32 vcc, 0, v2
	s_and_saveexec_b64 s[12:13], vcc
	s_cbranch_execz .LBB0_101
; %bb.100:
	s_bcnt1_i32_b64 s10, s[10:11]
	v_mov_b32_e32 v2, s10
	buffer_wbl2 sc0 sc1
	s_waitcnt vmcnt(0)
	global_atomic_add_x2 v[0:1], v[2:3], off offset:8 sc1
.LBB0_101:
	s_or_b64 exec, exec, s[12:13]
	s_waitcnt vmcnt(0)
	global_load_dwordx2 v[2:3], v[0:1], off offset:16
	s_waitcnt vmcnt(0)
	v_cmp_eq_u64_e32 vcc, 0, v[2:3]
	s_cbranch_vccnz .LBB0_103
; %bb.102:
	global_load_dword v0, v[0:1], off offset:24
	v_mov_b32_e32 v1, 0
	buffer_wbl2 sc0 sc1
	s_waitcnt vmcnt(0)
	global_store_dwordx2 v[2:3], v[0:1], off sc0 sc1
	v_and_b32_e32 v0, 0xffffff, v0
	s_nop 0
	v_readfirstlane_b32 m0, v0
	s_sendmsg sendmsg(MSG_INTERRUPT)
.LBB0_103:
	s_or_b64 exec, exec, s[8:9]
	s_branch .LBB0_107
.LBB0_104:                              ;   in Loop: Header=BB0_107 Depth=1
	s_or_b64 exec, exec, s[8:9]
	v_readfirstlane_b32 s8, v0
	s_cmp_eq_u32 s8, 0
	s_cbranch_scc1 .LBB0_106
; %bb.105:                              ;   in Loop: Header=BB0_107 Depth=1
	s_sleep 1
	s_cbranch_execnz .LBB0_107
	s_branch .LBB0_110
.LBB0_106:
	s_branch .LBB0_110
.LBB0_107:                              ; =>This Inner Loop Header: Depth=1
	v_mov_b32_e32 v0, 1
	s_and_saveexec_b64 s[8:9], s[0:1]
	s_cbranch_execz .LBB0_104
; %bb.108:                              ;   in Loop: Header=BB0_107 Depth=1
	global_load_dword v0, v[8:9], off offset:20 sc0 sc1
	s_waitcnt vmcnt(0)
	buffer_inv sc0 sc1
	v_and_b32_e32 v0, 1, v0
	s_branch .LBB0_104
.LBB0_109:
	s_or_b64 exec, exec, s[2:3]
	s_waitcnt vmcnt(0) lgkmcnt(0)
	s_setpc_b64 s[30:31]
.LBB0_110:
	s_and_saveexec_b64 s[8:9], s[0:1]
	s_cbranch_execz .LBB0_113
; %bb.111:
	v_mov_b32_e32 v6, 0
	global_load_dwordx2 v[4:5], v6, s[4:5] offset:40
	global_load_dwordx2 v[8:9], v6, s[4:5] offset:24 sc0 sc1
	global_load_dwordx2 v[10:11], v6, s[4:5]
	s_mov_b64 s[0:1], 0
	s_waitcnt vmcnt(2)
	v_lshl_add_u64 v[0:1], v[4:5], 0, 1
	v_lshl_add_u64 v[12:13], v[0:1], 0, s[6:7]
	v_cmp_eq_u64_e32 vcc, 0, v[12:13]
	s_waitcnt vmcnt(1)
	v_mov_b32_e32 v2, v8
	v_cndmask_b32_e32 v1, v13, v1, vcc
	v_cndmask_b32_e32 v0, v12, v0, vcc
	v_and_b32_e32 v3, v1, v5
	v_and_b32_e32 v4, v0, v4
	v_mul_lo_u32 v3, v3, 24
	v_mul_hi_u32 v5, v4, 24
	v_mul_lo_u32 v4, v4, 24
	v_add_u32_e32 v5, v5, v3
	s_waitcnt vmcnt(0)
	v_lshl_add_u64 v[4:5], v[10:11], 0, v[4:5]
	global_store_dwordx2 v[4:5], v[8:9], off
	v_mov_b32_e32 v3, v9
	buffer_wbl2 sc0 sc1
	s_waitcnt vmcnt(0)
	global_atomic_cmpswap_x2 v[2:3], v6, v[0:3], s[4:5] offset:24 sc0 sc1
	s_waitcnt vmcnt(0)
	v_cmp_ne_u64_e32 vcc, v[2:3], v[8:9]
	s_and_b64 exec, exec, vcc
	s_cbranch_execz .LBB0_113
.LBB0_112:                              ; =>This Inner Loop Header: Depth=1
	s_sleep 1
	global_store_dwordx2 v[4:5], v[2:3], off
	buffer_wbl2 sc0 sc1
	s_waitcnt vmcnt(0)
	global_atomic_cmpswap_x2 v[8:9], v6, v[0:3], s[4:5] offset:24 sc0 sc1
	s_waitcnt vmcnt(0)
	v_cmp_eq_u64_e32 vcc, v[8:9], v[2:3]
	s_or_b64 s[0:1], vcc, s[0:1]
	v_mov_b64_e32 v[2:3], v[8:9]
	s_andn2_b64 exec, exec, s[0:1]
	s_cbranch_execnz .LBB0_112
.LBB0_113:
	s_or_b64 exec, exec, s[8:9]
	s_or_b64 exec, exec, s[2:3]
	s_waitcnt vmcnt(0) lgkmcnt(0)
	s_setpc_b64 s[30:31]
.Lfunc_end0:
	.size	__ockl_fprintf_append_string_n, .Lfunc_end0-__ockl_fprintf_append_string_n
                                        ; -- End function
	.section	.AMDGPU.csdata,"",@progbits
; Function info:
; codeLenInByte = 4188
; NumSgprs: 38
; NumVgprs: 38
; NumAgprs: 0
; TotalNumVgprs: 38
; ScratchSize: 0
; MemoryBound: 0
	.text
	.p2align	2                               ; -- Begin function __assert_fail
	.type	__assert_fail,@function
__assert_fail:                          ; @__assert_fail
; %bb.0:
	s_waitcnt vmcnt(0) expcnt(0) lgkmcnt(0)
	s_mov_b32 s20, s33
	s_mov_b32 s33, s32
	s_xor_saveexec_b64 s[0:1], -1
	scratch_store_dword off, v39, s33 offset:48 ; 4-byte Folded Spill
	s_mov_b64 exec, s[0:1]
	v_writelane_b32 v39, s30, 0
	s_add_i32 s32, s32, 64
	s_nop 0
	v_writelane_b32 v39, s31, 1
	s_getpc_b64 s[0:1]
	s_add_u32 s0, s0, __const.__assert_fail.fmt@rel32@lo+4
	s_addc_u32 s1, s1, __const.__assert_fail.fmt@rel32@hi+12
	s_load_dwordx4 s[0:3], s[0:1], 0x0
	s_getpc_b64 s[4:5]
	s_add_u32 s4, s4, __const.__assert_fail.fmt@rel32@lo+20
	s_addc_u32 s5, s5, __const.__assert_fail.fmt@rel32@hi+28
	s_load_dwordx4 s[4:7], s[4:5], 0x0
	v_mov_b32_e32 v4, v0
	v_mov_b32_e32 v0, 0xa2e
	;; [unrolled: 1-line block ×3, first 2 shown]
	scratch_store_short off, v0, s33 offset:44
	s_waitcnt lgkmcnt(0)
	v_mov_b64_e32 v[0:1], s[0:1]
	v_mov_b64_e32 v[2:3], s[2:3]
	scratch_store_dwordx4 off, v[0:3], s33
	s_load_dwordx2 s[2:3], s[8:9], 0x50
	v_mov_b32_e32 v8, 0
	v_mov_b64_e32 v[0:1], s[4:5]
	v_mov_b64_e32 v[2:3], s[6:7]
	scratch_store_dwordx4 off, v[0:3], s33 offset:16
	v_mov_b64_e32 v[6:7], 0
	scratch_store_byte off, v8, s33 offset:46
	v_mov_b32_e32 v0, 0x73256020
	v_mov_b32_e32 v1, 0x61662027
	;; [unrolled: 1-line block ×3, first 2 shown]
	scratch_store_dwordx3 off, v[0:2], s33 offset:32
	s_nop 1
	v_mbcnt_lo_u32_b32 v0, -1, 0
	v_mbcnt_hi_u32_b32 v38, -1, v0
	s_nop 0
	v_readfirstlane_b32 s0, v38
	s_nop 1
	v_cmp_eq_u32_e64 s[0:1], s0, v38
	s_and_saveexec_b64 s[4:5], s[0:1]
	s_cbranch_execz .LBB1_6
; %bb.1:
	s_waitcnt lgkmcnt(0)
	global_load_dwordx2 v[2:3], v8, s[2:3] offset:24 sc0 sc1
	s_waitcnt vmcnt(0)
	buffer_inv sc0 sc1
	global_load_dwordx2 v[0:1], v8, s[2:3] offset:40
	global_load_dwordx2 v[6:7], v8, s[2:3]
	s_waitcnt vmcnt(1)
	v_and_b32_e32 v0, v0, v2
	v_and_b32_e32 v1, v1, v3
	v_mul_lo_u32 v1, v1, 24
	v_mul_hi_u32 v9, v0, 24
	v_add_u32_e32 v1, v9, v1
	v_mul_lo_u32 v0, v0, 24
	s_waitcnt vmcnt(0)
	v_lshl_add_u64 v[0:1], v[6:7], 0, v[0:1]
	global_load_dwordx2 v[0:1], v[0:1], off sc0 sc1
	s_waitcnt vmcnt(0)
	global_atomic_cmpswap_x2 v[6:7], v8, v[0:3], s[2:3] offset:24 sc0 sc1
	s_waitcnt vmcnt(0)
	buffer_inv sc0 sc1
	v_cmp_ne_u64_e32 vcc, v[6:7], v[2:3]
	s_and_saveexec_b64 s[6:7], vcc
	s_cbranch_execz .LBB1_5
; %bb.2:
	s_mov_b64 s[10:11], 0
.LBB1_3:                                ; =>This Inner Loop Header: Depth=1
	s_sleep 1
	global_load_dwordx2 v[0:1], v8, s[2:3] offset:40
	global_load_dwordx2 v[10:11], v8, s[2:3]
	v_mov_b64_e32 v[2:3], v[6:7]
	s_waitcnt vmcnt(1)
	v_and_b32_e32 v0, v0, v2
	v_and_b32_e32 v7, v1, v3
	s_waitcnt vmcnt(0)
	v_mad_u64_u32 v[0:1], s[12:13], v0, 24, v[10:11]
	v_mov_b32_e32 v6, v1
	v_mad_u64_u32 v[6:7], s[12:13], v7, 24, v[6:7]
	v_mov_b32_e32 v1, v6
	global_load_dwordx2 v[0:1], v[0:1], off sc0 sc1
	s_waitcnt vmcnt(0)
	global_atomic_cmpswap_x2 v[6:7], v8, v[0:3], s[2:3] offset:24 sc0 sc1
	s_waitcnt vmcnt(0)
	buffer_inv sc0 sc1
	v_cmp_eq_u64_e32 vcc, v[6:7], v[2:3]
	s_or_b64 s[10:11], vcc, s[10:11]
	s_andn2_b64 exec, exec, s[10:11]
	s_cbranch_execnz .LBB1_3
; %bb.4:
	s_or_b64 exec, exec, s[10:11]
.LBB1_5:
	s_or_b64 exec, exec, s[6:7]
.LBB1_6:
	s_or_b64 exec, exec, s[4:5]
	s_waitcnt lgkmcnt(0)
	global_load_dwordx2 v[10:11], v8, s[2:3] offset:40
	global_load_dwordx4 v[0:3], v8, s[2:3]
	v_readfirstlane_b32 s4, v6
	v_readfirstlane_b32 s5, v7
	s_mov_b64 s[6:7], exec
	s_waitcnt vmcnt(1)
	v_readfirstlane_b32 s10, v10
	v_readfirstlane_b32 s11, v11
	s_and_b64 s[10:11], s[4:5], s[10:11]
	s_mul_i32 s12, s11, 24
	s_mul_hi_u32 s13, s10, 24
	s_add_i32 s13, s13, s12
	s_mul_i32 s12, s10, 24
	s_waitcnt vmcnt(0)
	v_lshl_add_u64 v[6:7], v[0:1], 0, s[12:13]
	s_and_saveexec_b64 s[12:13], s[0:1]
	s_cbranch_execz .LBB1_8
; %bb.7:
	v_mov_b64_e32 v[8:9], s[6:7]
	v_mov_b32_e32 v10, 2
	v_mov_b32_e32 v11, 1
	global_store_dwordx4 v[6:7], v[8:11], off offset:8
.LBB1_8:
	s_or_b64 exec, exec, s[12:13]
	s_lshl_b64 s[6:7], s[10:11], 12
	v_lshl_add_u64 v[8:9], v[2:3], 0, s[6:7]
	s_mov_b32 s12, 0
	v_mov_b32_e32 v33, 0
	v_lshlrev_b32_e32 v32, 6, v38
	v_mov_b32_e32 v10, 33
	v_mov_b32_e32 v12, 1
	;; [unrolled: 1-line block ×4, first 2 shown]
	v_readfirstlane_b32 s6, v8
	v_readfirstlane_b32 s7, v9
	s_mov_b32 s13, s12
	s_mov_b32 s14, s12
	;; [unrolled: 1-line block ×3, first 2 shown]
	s_nop 1
	global_store_dwordx4 v32, v[10:13], s[6:7]
	s_nop 1
	v_mov_b64_e32 v[10:11], s[12:13]
	v_mov_b64_e32 v[12:13], s[14:15]
	global_store_dwordx4 v32, v[10:13], s[6:7] offset:16
	global_store_dwordx4 v32, v[10:13], s[6:7] offset:32
	;; [unrolled: 1-line block ×3, first 2 shown]
	s_and_saveexec_b64 s[6:7], s[0:1]
	s_cbranch_execz .LBB1_16
; %bb.9:
	global_load_dwordx2 v[14:15], v33, s[2:3] offset:32 sc0 sc1
	global_load_dwordx2 v[2:3], v33, s[2:3] offset:40
	v_mov_b32_e32 v12, s4
	v_mov_b32_e32 v13, s5
	s_waitcnt vmcnt(0)
	v_and_b32_e32 v2, s4, v2
	v_and_b32_e32 v3, s5, v3
	v_mul_lo_u32 v3, v3, 24
	v_mul_hi_u32 v10, v2, 24
	v_mul_lo_u32 v2, v2, 24
	v_add_u32_e32 v3, v10, v3
	v_lshl_add_u64 v[10:11], v[0:1], 0, v[2:3]
	global_store_dwordx2 v[10:11], v[14:15], off
	buffer_wbl2 sc0 sc1
	s_waitcnt vmcnt(0)
	global_atomic_cmpswap_x2 v[2:3], v33, v[12:15], s[2:3] offset:32 sc0 sc1
	s_waitcnt vmcnt(0)
	v_cmp_ne_u64_e32 vcc, v[2:3], v[14:15]
	s_and_saveexec_b64 s[10:11], vcc
	s_cbranch_execz .LBB1_12
; %bb.10:
	s_mov_b64 s[12:13], 0
.LBB1_11:                               ; =>This Inner Loop Header: Depth=1
	s_sleep 1
	global_store_dwordx2 v[10:11], v[2:3], off
	v_mov_b32_e32 v0, s4
	v_mov_b32_e32 v1, s5
	buffer_wbl2 sc0 sc1
	s_waitcnt vmcnt(0)
	global_atomic_cmpswap_x2 v[0:1], v33, v[0:3], s[2:3] offset:32 sc0 sc1
	s_waitcnt vmcnt(0)
	v_cmp_eq_u64_e32 vcc, v[0:1], v[2:3]
	s_or_b64 s[12:13], vcc, s[12:13]
	v_mov_b64_e32 v[2:3], v[0:1]
	s_andn2_b64 exec, exec, s[12:13]
	s_cbranch_execnz .LBB1_11
.LBB1_12:
	s_or_b64 exec, exec, s[10:11]
	v_mov_b32_e32 v3, 0
	global_load_dwordx2 v[0:1], v3, s[2:3] offset:16
	s_mov_b64 s[10:11], exec
	v_mbcnt_lo_u32_b32 v2, s10, 0
	v_mbcnt_hi_u32_b32 v2, s11, v2
	v_cmp_eq_u32_e32 vcc, 0, v2
	s_and_saveexec_b64 s[12:13], vcc
	s_cbranch_execz .LBB1_14
; %bb.13:
	s_bcnt1_i32_b64 s10, s[10:11]
	v_mov_b32_e32 v2, s10
	buffer_wbl2 sc0 sc1
	s_waitcnt vmcnt(0)
	global_atomic_add_x2 v[0:1], v[2:3], off offset:8 sc1
.LBB1_14:
	s_or_b64 exec, exec, s[12:13]
	s_waitcnt vmcnt(0)
	global_load_dwordx2 v[2:3], v[0:1], off offset:16
	s_waitcnt vmcnt(0)
	v_cmp_eq_u64_e32 vcc, 0, v[2:3]
	s_cbranch_vccnz .LBB1_16
; %bb.15:
	global_load_dword v0, v[0:1], off offset:24
	v_mov_b32_e32 v1, 0
	buffer_wbl2 sc0 sc1
	s_waitcnt vmcnt(0)
	global_store_dwordx2 v[2:3], v[0:1], off sc0 sc1
	v_and_b32_e32 v0, 0xffffff, v0
	s_nop 0
	v_readfirstlane_b32 m0, v0
	s_sendmsg sendmsg(MSG_INTERRUPT)
.LBB1_16:
	s_or_b64 exec, exec, s[6:7]
	v_lshl_add_u64 v[0:1], v[8:9], 0, v[32:33]
	s_branch .LBB1_20
.LBB1_17:                               ;   in Loop: Header=BB1_20 Depth=1
	s_or_b64 exec, exec, s[6:7]
	v_readfirstlane_b32 s6, v2
	s_cmp_eq_u32 s6, 0
	s_cbranch_scc1 .LBB1_19
; %bb.18:                               ;   in Loop: Header=BB1_20 Depth=1
	s_sleep 1
	s_cbranch_execnz .LBB1_20
	s_branch .LBB1_22
.LBB1_19:
	s_branch .LBB1_22
.LBB1_20:                               ; =>This Inner Loop Header: Depth=1
	v_mov_b32_e32 v2, 1
	s_and_saveexec_b64 s[6:7], s[0:1]
	s_cbranch_execz .LBB1_17
; %bb.21:                               ;   in Loop: Header=BB1_20 Depth=1
	global_load_dword v2, v[6:7], off offset:20 sc0 sc1
	s_waitcnt vmcnt(0)
	buffer_inv sc0 sc1
	v_and_b32_e32 v2, 1, v2
	s_branch .LBB1_17
.LBB1_22:
	global_load_dwordx2 v[6:7], v[0:1], off
	s_and_saveexec_b64 s[6:7], s[0:1]
	s_cbranch_execz .LBB1_25
; %bb.23:
	v_mov_b32_e32 v10, 0
	global_load_dwordx2 v[8:9], v10, s[2:3] offset:40
	global_load_dwordx2 v[12:13], v10, s[2:3] offset:24 sc0 sc1
	global_load_dwordx2 v[14:15], v10, s[2:3]
	s_mov_b64 s[0:1], 0
	s_waitcnt vmcnt(2)
	v_lshl_add_u64 v[0:1], v[8:9], 0, 1
	v_lshl_add_u64 v[16:17], v[0:1], 0, s[4:5]
	v_cmp_eq_u64_e32 vcc, 0, v[16:17]
	s_waitcnt vmcnt(1)
	v_mov_b32_e32 v2, v12
	v_cndmask_b32_e32 v1, v17, v1, vcc
	v_cndmask_b32_e32 v0, v16, v0, vcc
	v_and_b32_e32 v3, v1, v9
	v_and_b32_e32 v8, v0, v8
	v_mul_lo_u32 v3, v3, 24
	v_mul_hi_u32 v9, v8, 24
	v_mul_lo_u32 v8, v8, 24
	v_add_u32_e32 v9, v9, v3
	s_waitcnt vmcnt(0)
	v_lshl_add_u64 v[8:9], v[14:15], 0, v[8:9]
	global_store_dwordx2 v[8:9], v[12:13], off
	v_mov_b32_e32 v3, v13
	buffer_wbl2 sc0 sc1
	s_waitcnt vmcnt(0)
	global_atomic_cmpswap_x2 v[2:3], v10, v[0:3], s[2:3] offset:24 sc0 sc1
	s_waitcnt vmcnt(0)
	v_cmp_ne_u64_e32 vcc, v[2:3], v[12:13]
	s_and_b64 exec, exec, vcc
	s_cbranch_execz .LBB1_25
.LBB1_24:                               ; =>This Inner Loop Header: Depth=1
	s_sleep 1
	global_store_dwordx2 v[8:9], v[2:3], off
	buffer_wbl2 sc0 sc1
	s_waitcnt vmcnt(0)
	global_atomic_cmpswap_x2 v[12:13], v10, v[0:3], s[2:3] offset:24 sc0 sc1
	s_waitcnt vmcnt(0)
	v_cmp_eq_u64_e32 vcc, v[12:13], v[2:3]
	s_or_b64 s[0:1], vcc, s[0:1]
	v_mov_b64_e32 v[2:3], v[12:13]
	s_andn2_b64 exec, exec, s[0:1]
	s_cbranch_execnz .LBB1_24
.LBB1_25:
	s_or_b64 exec, exec, s[6:7]
	v_mov_b32_e32 v1, s33
	s_mov_b64 s[0:1], 0
.LBB1_26:                               ; =>This Inner Loop Header: Depth=1
	scratch_load_ubyte v2, v1, off
	v_add_u32_e32 v0, 1, v1
	v_mov_b32_e32 v1, v0
	s_waitcnt vmcnt(0)
	v_cmp_eq_u16_e32 vcc, 0, v2
	s_or_b64 s[0:1], vcc, s[0:1]
	s_andn2_b64 exec, exec, s[0:1]
	s_cbranch_execnz .LBB1_26
; %bb.27:
	s_or_b64 exec, exec, s[0:1]
	v_mov_b32_e32 v31, s33
	v_cmp_ne_u32_e32 vcc, -1, v31
	s_cbranch_vccz .LBB1_112
; %bb.28:
	v_subrev_u32_e32 v28, s33, v0
	v_ashrrev_i32_e32 v29, 31, v28
	v_and_b32_e32 v30, 2, v6
	v_mov_b32_e32 v33, 0
	v_and_b32_e32 v0, -3, v6
	v_mov_b32_e32 v1, v7
	s_mov_b64 s[4:5], 0
	s_mov_b32 s16, 0
	s_movk_i32 s17, 0xff1f
	v_mov_b32_e32 v10, 2
	v_mov_b32_e32 v11, 1
	s_branch .LBB1_30
.LBB1_29:                               ;   in Loop: Header=BB1_30 Depth=1
	s_or_b64 exec, exec, s[10:11]
	v_sub_co_u32_e32 v28, vcc, v28, v34
	v_add_u32_e32 v31, v31, v34
	s_nop 0
	v_subb_co_u32_e32 v29, vcc, v29, v35, vcc
	v_cmp_eq_u64_e32 vcc, 0, v[28:29]
	s_or_b64 s[4:5], vcc, s[4:5]
	s_andn2_b64 exec, exec, s[4:5]
	s_cbranch_execz .LBB1_113
.LBB1_30:                               ; =>This Loop Header: Depth=1
                                        ;     Child Loop BB1_33 Depth 2
                                        ;     Child Loop BB1_41 Depth 2
	;; [unrolled: 1-line block ×11, first 2 shown]
	v_cmp_gt_u64_e32 vcc, 56, v[28:29]
                                        ; implicit-def: $vgpr2_vgpr3
                                        ; implicit-def: $sgpr6
	s_nop 1
	v_cndmask_b32_e32 v35, 0, v29, vcc
	v_cndmask_b32_e32 v34, 56, v28, vcc
	v_cmp_gt_u64_e32 vcc, 8, v[28:29]
	s_and_saveexec_b64 s[0:1], vcc
	s_xor_b64 s[0:1], exec, s[0:1]
	s_cbranch_execz .LBB1_36
; %bb.31:                               ;   in Loop: Header=BB1_30 Depth=1
	s_mov_b64 s[10:11], 0
	v_cmp_ne_u64_e32 vcc, 0, v[28:29]
	s_waitcnt vmcnt(0)
	v_mov_b64_e32 v[2:3], 0
	s_and_saveexec_b64 s[6:7], vcc
	s_cbranch_execz .LBB1_35
; %bb.32:                               ;   in Loop: Header=BB1_30 Depth=1
	v_lshlrev_b64 v[8:9], 3, v[34:35]
	v_mov_b64_e32 v[2:3], 0
	s_mov_b64 s[12:13], 0
	v_mov_b32_e32 v9, v31
.LBB1_33:                               ;   Parent Loop BB1_30 Depth=1
                                        ; =>  This Inner Loop Header: Depth=2
	scratch_load_ubyte v12, v9, off
	v_mov_b32_e32 v13, s16
	v_add_u32_e32 v9, 1, v9
	s_waitcnt vmcnt(0)
	v_and_b32_e32 v12, 0xffff, v12
	v_lshlrev_b64 v[12:13], s12, v[12:13]
	s_add_u32 s12, s12, 8
	s_addc_u32 s13, s13, 0
	v_cmp_eq_u32_e32 vcc, s12, v8
	v_or_b32_e32 v3, v13, v3
	s_or_b64 s[10:11], vcc, s[10:11]
	v_or_b32_e32 v2, v12, v2
	s_andn2_b64 exec, exec, s[10:11]
	s_cbranch_execnz .LBB1_33
; %bb.34:                               ;   in Loop: Header=BB1_30 Depth=1
	s_or_b64 exec, exec, s[10:11]
.LBB1_35:                               ;   in Loop: Header=BB1_30 Depth=1
	s_or_b64 exec, exec, s[6:7]
	s_mov_b32 s6, 0
.LBB1_36:                               ;   in Loop: Header=BB1_30 Depth=1
	s_or_saveexec_b64 s[0:1], s[0:1]
	v_mov_b32_e32 v9, s6
	v_mov_b32_e32 v8, v31
	s_xor_b64 exec, exec, s[0:1]
	s_cbranch_execz .LBB1_38
; %bb.37:                               ;   in Loop: Header=BB1_30 Depth=1
	scratch_load_dwordx2 v[2:3], v31, off
	v_add_u32_e32 v9, -8, v34
	s_waitcnt vmcnt(0)
	v_and_b32_e32 v8, 0xff, v3
	v_and_b32_e32 v12, 0xff00, v3
	v_and_b32_e32 v13, 0xff0000, v3
	v_and_b32_e32 v3, 0xff000000, v3
	v_or_b32_e32 v8, v8, v12
	v_or3_b32 v2, v2, 0, 0
	v_or3_b32 v3, v8, v13, v3
	v_add_u32_e32 v8, 8, v31
.LBB1_38:                               ;   in Loop: Header=BB1_30 Depth=1
	s_or_b64 exec, exec, s[0:1]
	v_cmp_gt_u32_e32 vcc, 8, v9
                                        ; implicit-def: $vgpr12_vgpr13
                                        ; implicit-def: $sgpr6
	s_and_saveexec_b64 s[0:1], vcc
	s_xor_b64 s[0:1], exec, s[0:1]
	s_cbranch_execz .LBB1_44
; %bb.39:                               ;   in Loop: Header=BB1_30 Depth=1
	v_cmp_ne_u32_e32 vcc, 0, v9
	v_mov_b64_e32 v[12:13], 0
	s_and_saveexec_b64 s[6:7], vcc
	s_cbranch_execz .LBB1_43
; %bb.40:                               ;   in Loop: Header=BB1_30 Depth=1
	s_mov_b32 s14, 0
	s_mov_b64 s[10:11], 0
	v_mov_b64_e32 v[12:13], 0
	s_mov_b64 s[12:13], 0
.LBB1_41:                               ;   Parent Loop BB1_30 Depth=1
                                        ; =>  This Inner Loop Header: Depth=2
	v_add_u32_e32 v14, s14, v8
	scratch_load_ubyte v14, v14, off
	v_mov_b32_e32 v15, s16
	s_add_i32 s14, s14, 1
	v_cmp_eq_u32_e32 vcc, s14, v9
	s_waitcnt vmcnt(0)
	v_and_b32_e32 v14, 0xffff, v14
	v_lshlrev_b64 v[14:15], s12, v[14:15]
	s_add_u32 s12, s12, 8
	s_addc_u32 s13, s13, 0
	v_or_b32_e32 v13, v15, v13
	s_or_b64 s[10:11], vcc, s[10:11]
	v_or_b32_e32 v12, v14, v12
	s_andn2_b64 exec, exec, s[10:11]
	s_cbranch_execnz .LBB1_41
; %bb.42:                               ;   in Loop: Header=BB1_30 Depth=1
	s_or_b64 exec, exec, s[10:11]
.LBB1_43:                               ;   in Loop: Header=BB1_30 Depth=1
	s_or_b64 exec, exec, s[6:7]
	s_mov_b32 s6, 0
                                        ; implicit-def: $vgpr9
.LBB1_44:                               ;   in Loop: Header=BB1_30 Depth=1
	s_or_saveexec_b64 s[0:1], s[0:1]
	v_mov_b32_e32 v16, s6
	s_xor_b64 exec, exec, s[0:1]
	s_cbranch_execz .LBB1_46
; %bb.45:                               ;   in Loop: Header=BB1_30 Depth=1
	scratch_load_dwordx2 v[12:13], v8, off
	v_add_u32_e32 v16, -8, v9
	v_add_u32_e32 v8, 8, v8
	s_waitcnt vmcnt(0)
	v_and_b32_e32 v9, 0xff, v13
	v_and_b32_e32 v14, 0xff00, v13
	;; [unrolled: 1-line block ×4, first 2 shown]
	v_or_b32_e32 v9, v9, v14
	v_or3_b32 v12, v12, 0, 0
	v_or3_b32 v13, v9, v15, v13
.LBB1_46:                               ;   in Loop: Header=BB1_30 Depth=1
	s_or_b64 exec, exec, s[0:1]
	v_cmp_gt_u32_e32 vcc, 8, v16
                                        ; implicit-def: $sgpr6
	s_and_saveexec_b64 s[0:1], vcc
	s_xor_b64 s[0:1], exec, s[0:1]
	s_cbranch_execz .LBB1_52
; %bb.47:                               ;   in Loop: Header=BB1_30 Depth=1
	v_cmp_ne_u32_e32 vcc, 0, v16
	v_mov_b64_e32 v[14:15], 0
	s_and_saveexec_b64 s[6:7], vcc
	s_cbranch_execz .LBB1_51
; %bb.48:                               ;   in Loop: Header=BB1_30 Depth=1
	s_mov_b32 s14, 0
	s_mov_b64 s[10:11], 0
	v_mov_b64_e32 v[14:15], 0
	s_mov_b64 s[12:13], 0
.LBB1_49:                               ;   Parent Loop BB1_30 Depth=1
                                        ; =>  This Inner Loop Header: Depth=2
	v_add_u32_e32 v9, s14, v8
	scratch_load_ubyte v9, v9, off
	v_mov_b32_e32 v19, s16
	s_add_i32 s14, s14, 1
	v_cmp_eq_u32_e32 vcc, s14, v16
	s_waitcnt vmcnt(0)
	v_and_b32_e32 v18, 0xffff, v9
	v_lshlrev_b64 v[18:19], s12, v[18:19]
	s_add_u32 s12, s12, 8
	s_addc_u32 s13, s13, 0
	v_or_b32_e32 v15, v19, v15
	s_or_b64 s[10:11], vcc, s[10:11]
	v_or_b32_e32 v14, v18, v14
	s_andn2_b64 exec, exec, s[10:11]
	s_cbranch_execnz .LBB1_49
; %bb.50:                               ;   in Loop: Header=BB1_30 Depth=1
	s_or_b64 exec, exec, s[10:11]
.LBB1_51:                               ;   in Loop: Header=BB1_30 Depth=1
	s_or_b64 exec, exec, s[6:7]
	s_mov_b32 s6, 0
                                        ; implicit-def: $vgpr16
.LBB1_52:                               ;   in Loop: Header=BB1_30 Depth=1
	s_or_saveexec_b64 s[0:1], s[0:1]
	v_mov_b32_e32 v9, s6
	s_xor_b64 exec, exec, s[0:1]
	s_cbranch_execz .LBB1_54
; %bb.53:                               ;   in Loop: Header=BB1_30 Depth=1
	scratch_load_dwordx2 v[14:15], v8, off
	v_add_u32_e32 v9, -8, v16
	v_add_u32_e32 v8, 8, v8
	s_waitcnt vmcnt(0)
	v_and_b32_e32 v16, 0xff, v15
	v_and_b32_e32 v17, 0xff00, v15
	;; [unrolled: 1-line block ×4, first 2 shown]
	v_or_b32_e32 v16, v16, v17
	v_or3_b32 v14, v14, 0, 0
	v_or3_b32 v15, v16, v18, v15
.LBB1_54:                               ;   in Loop: Header=BB1_30 Depth=1
	s_or_b64 exec, exec, s[0:1]
	v_cmp_gt_u32_e32 vcc, 8, v9
                                        ; implicit-def: $vgpr16_vgpr17
                                        ; implicit-def: $sgpr6
	s_and_saveexec_b64 s[0:1], vcc
	s_xor_b64 s[0:1], exec, s[0:1]
	s_cbranch_execz .LBB1_60
; %bb.55:                               ;   in Loop: Header=BB1_30 Depth=1
	v_cmp_ne_u32_e32 vcc, 0, v9
	v_mov_b64_e32 v[16:17], 0
	s_and_saveexec_b64 s[6:7], vcc
	s_cbranch_execz .LBB1_59
; %bb.56:                               ;   in Loop: Header=BB1_30 Depth=1
	s_mov_b32 s14, 0
	s_mov_b64 s[10:11], 0
	v_mov_b64_e32 v[16:17], 0
	s_mov_b64 s[12:13], 0
.LBB1_57:                               ;   Parent Loop BB1_30 Depth=1
                                        ; =>  This Inner Loop Header: Depth=2
	v_add_u32_e32 v18, s14, v8
	scratch_load_ubyte v18, v18, off
	v_mov_b32_e32 v19, s16
	s_add_i32 s14, s14, 1
	v_cmp_eq_u32_e32 vcc, s14, v9
	s_waitcnt vmcnt(0)
	v_and_b32_e32 v18, 0xffff, v18
	v_lshlrev_b64 v[18:19], s12, v[18:19]
	s_add_u32 s12, s12, 8
	s_addc_u32 s13, s13, 0
	v_or_b32_e32 v17, v19, v17
	s_or_b64 s[10:11], vcc, s[10:11]
	v_or_b32_e32 v16, v18, v16
	s_andn2_b64 exec, exec, s[10:11]
	s_cbranch_execnz .LBB1_57
; %bb.58:                               ;   in Loop: Header=BB1_30 Depth=1
	s_or_b64 exec, exec, s[10:11]
.LBB1_59:                               ;   in Loop: Header=BB1_30 Depth=1
	s_or_b64 exec, exec, s[6:7]
	s_mov_b32 s6, 0
                                        ; implicit-def: $vgpr9
.LBB1_60:                               ;   in Loop: Header=BB1_30 Depth=1
	s_or_saveexec_b64 s[0:1], s[0:1]
	v_mov_b32_e32 v20, s6
	s_xor_b64 exec, exec, s[0:1]
	s_cbranch_execz .LBB1_62
; %bb.61:                               ;   in Loop: Header=BB1_30 Depth=1
	scratch_load_dwordx2 v[16:17], v8, off
	v_add_u32_e32 v20, -8, v9
	v_add_u32_e32 v8, 8, v8
	s_waitcnt vmcnt(0)
	v_and_b32_e32 v9, 0xff, v17
	v_and_b32_e32 v18, 0xff00, v17
	;; [unrolled: 1-line block ×4, first 2 shown]
	v_or_b32_e32 v9, v9, v18
	v_or3_b32 v16, v16, 0, 0
	v_or3_b32 v17, v9, v19, v17
.LBB1_62:                               ;   in Loop: Header=BB1_30 Depth=1
	s_or_b64 exec, exec, s[0:1]
	v_cmp_gt_u32_e32 vcc, 8, v20
                                        ; implicit-def: $sgpr6
	s_and_saveexec_b64 s[0:1], vcc
	s_xor_b64 s[0:1], exec, s[0:1]
	s_cbranch_execz .LBB1_68
; %bb.63:                               ;   in Loop: Header=BB1_30 Depth=1
	v_cmp_ne_u32_e32 vcc, 0, v20
	v_mov_b64_e32 v[18:19], 0
	s_and_saveexec_b64 s[6:7], vcc
	s_cbranch_execz .LBB1_67
; %bb.64:                               ;   in Loop: Header=BB1_30 Depth=1
	s_mov_b32 s14, 0
	s_mov_b64 s[10:11], 0
	v_mov_b64_e32 v[18:19], 0
	s_mov_b64 s[12:13], 0
.LBB1_65:                               ;   Parent Loop BB1_30 Depth=1
                                        ; =>  This Inner Loop Header: Depth=2
	v_add_u32_e32 v9, s14, v8
	scratch_load_ubyte v9, v9, off
	v_mov_b32_e32 v23, s16
	s_add_i32 s14, s14, 1
	v_cmp_eq_u32_e32 vcc, s14, v20
	s_waitcnt vmcnt(0)
	v_and_b32_e32 v22, 0xffff, v9
	v_lshlrev_b64 v[22:23], s12, v[22:23]
	s_add_u32 s12, s12, 8
	s_addc_u32 s13, s13, 0
	v_or_b32_e32 v19, v23, v19
	s_or_b64 s[10:11], vcc, s[10:11]
	v_or_b32_e32 v18, v22, v18
	s_andn2_b64 exec, exec, s[10:11]
	s_cbranch_execnz .LBB1_65
; %bb.66:                               ;   in Loop: Header=BB1_30 Depth=1
	s_or_b64 exec, exec, s[10:11]
.LBB1_67:                               ;   in Loop: Header=BB1_30 Depth=1
	s_or_b64 exec, exec, s[6:7]
	s_mov_b32 s6, 0
                                        ; implicit-def: $vgpr20
.LBB1_68:                               ;   in Loop: Header=BB1_30 Depth=1
	s_or_saveexec_b64 s[0:1], s[0:1]
	v_mov_b32_e32 v9, s6
	s_xor_b64 exec, exec, s[0:1]
	s_cbranch_execz .LBB1_70
; %bb.69:                               ;   in Loop: Header=BB1_30 Depth=1
	scratch_load_dwordx2 v[18:19], v8, off
	v_add_u32_e32 v9, -8, v20
	v_add_u32_e32 v8, 8, v8
	s_waitcnt vmcnt(0)
	v_and_b32_e32 v20, 0xff, v19
	v_and_b32_e32 v21, 0xff00, v19
	v_and_b32_e32 v22, 0xff0000, v19
	v_and_b32_e32 v19, 0xff000000, v19
	v_or_b32_e32 v20, v20, v21
	v_or3_b32 v18, v18, 0, 0
	v_or3_b32 v19, v20, v22, v19
.LBB1_70:                               ;   in Loop: Header=BB1_30 Depth=1
	s_or_b64 exec, exec, s[0:1]
	v_cmp_gt_u32_e32 vcc, 8, v9
                                        ; implicit-def: $vgpr20_vgpr21
                                        ; implicit-def: $sgpr6
	s_and_saveexec_b64 s[0:1], vcc
	s_xor_b64 s[0:1], exec, s[0:1]
	s_cbranch_execz .LBB1_76
; %bb.71:                               ;   in Loop: Header=BB1_30 Depth=1
	v_cmp_ne_u32_e32 vcc, 0, v9
	v_mov_b64_e32 v[20:21], 0
	s_and_saveexec_b64 s[6:7], vcc
	s_cbranch_execz .LBB1_75
; %bb.72:                               ;   in Loop: Header=BB1_30 Depth=1
	s_mov_b32 s14, 0
	s_mov_b64 s[10:11], 0
	v_mov_b64_e32 v[20:21], 0
	s_mov_b64 s[12:13], 0
.LBB1_73:                               ;   Parent Loop BB1_30 Depth=1
                                        ; =>  This Inner Loop Header: Depth=2
	v_add_u32_e32 v22, s14, v8
	scratch_load_ubyte v22, v22, off
	v_mov_b32_e32 v23, s16
	s_add_i32 s14, s14, 1
	v_cmp_eq_u32_e32 vcc, s14, v9
	s_waitcnt vmcnt(0)
	v_and_b32_e32 v22, 0xffff, v22
	v_lshlrev_b64 v[22:23], s12, v[22:23]
	s_add_u32 s12, s12, 8
	s_addc_u32 s13, s13, 0
	v_or_b32_e32 v21, v23, v21
	s_or_b64 s[10:11], vcc, s[10:11]
	v_or_b32_e32 v20, v22, v20
	s_andn2_b64 exec, exec, s[10:11]
	s_cbranch_execnz .LBB1_73
; %bb.74:                               ;   in Loop: Header=BB1_30 Depth=1
	s_or_b64 exec, exec, s[10:11]
.LBB1_75:                               ;   in Loop: Header=BB1_30 Depth=1
	s_or_b64 exec, exec, s[6:7]
	s_mov_b32 s6, 0
                                        ; implicit-def: $vgpr9
.LBB1_76:                               ;   in Loop: Header=BB1_30 Depth=1
	s_or_saveexec_b64 s[0:1], s[0:1]
	v_mov_b32_e32 v24, s6
	s_xor_b64 exec, exec, s[0:1]
	s_cbranch_execz .LBB1_78
; %bb.77:                               ;   in Loop: Header=BB1_30 Depth=1
	scratch_load_dwordx2 v[20:21], v8, off
	v_add_u32_e32 v24, -8, v9
	v_add_u32_e32 v8, 8, v8
	s_waitcnt vmcnt(0)
	v_and_b32_e32 v9, 0xff, v21
	v_and_b32_e32 v22, 0xff00, v21
	;; [unrolled: 1-line block ×4, first 2 shown]
	v_or_b32_e32 v9, v9, v22
	v_or3_b32 v20, v20, 0, 0
	v_or3_b32 v21, v9, v23, v21
.LBB1_78:                               ;   in Loop: Header=BB1_30 Depth=1
	s_or_b64 exec, exec, s[0:1]
	v_cmp_gt_u32_e32 vcc, 8, v24
	s_and_saveexec_b64 s[0:1], vcc
	s_xor_b64 s[0:1], exec, s[0:1]
	s_cbranch_execz .LBB1_84
; %bb.79:                               ;   in Loop: Header=BB1_30 Depth=1
	v_cmp_ne_u32_e32 vcc, 0, v24
	v_mov_b64_e32 v[22:23], 0
	s_and_saveexec_b64 s[6:7], vcc
	s_cbranch_execz .LBB1_83
; %bb.80:                               ;   in Loop: Header=BB1_30 Depth=1
	s_mov_b64 s[10:11], 0
	v_mov_b64_e32 v[22:23], 0
	s_mov_b64 s[12:13], 0
.LBB1_81:                               ;   Parent Loop BB1_30 Depth=1
                                        ; =>  This Inner Loop Header: Depth=2
	scratch_load_ubyte v9, v8, off
	v_mov_b32_e32 v27, s16
	v_add_u32_e32 v24, -1, v24
	v_cmp_eq_u32_e32 vcc, 0, v24
	v_add_u32_e32 v8, 1, v8
	s_waitcnt vmcnt(0)
	v_and_b32_e32 v26, 0xffff, v9
	v_lshlrev_b64 v[26:27], s12, v[26:27]
	s_add_u32 s12, s12, 8
	s_addc_u32 s13, s13, 0
	v_or_b32_e32 v23, v27, v23
	s_or_b64 s[10:11], vcc, s[10:11]
	v_or_b32_e32 v22, v26, v22
	s_andn2_b64 exec, exec, s[10:11]
	s_cbranch_execnz .LBB1_81
; %bb.82:                               ;   in Loop: Header=BB1_30 Depth=1
	s_or_b64 exec, exec, s[10:11]
.LBB1_83:                               ;   in Loop: Header=BB1_30 Depth=1
	s_or_b64 exec, exec, s[6:7]
                                        ; implicit-def: $vgpr8
.LBB1_84:                               ;   in Loop: Header=BB1_30 Depth=1
	s_andn2_saveexec_b64 s[0:1], s[0:1]
	s_cbranch_execz .LBB1_86
; %bb.85:                               ;   in Loop: Header=BB1_30 Depth=1
	scratch_load_dwordx2 v[8:9], v8, off
	s_waitcnt vmcnt(0)
	v_and_b32_e32 v22, 0xff, v9
	v_and_b32_e32 v23, 0xff00, v9
	;; [unrolled: 1-line block ×4, first 2 shown]
	v_or_b32_e32 v22, v22, v23
	v_or3_b32 v23, v22, v24, v9
	v_or3_b32 v22, v8, 0, 0
.LBB1_86:                               ;   in Loop: Header=BB1_30 Depth=1
	s_or_b64 exec, exec, s[0:1]
	v_readfirstlane_b32 s0, v38
	v_mov_b64_e32 v[8:9], 0
	s_nop 0
	v_cmp_eq_u32_e64 s[0:1], s0, v38
	s_and_saveexec_b64 s[6:7], s[0:1]
	s_cbranch_execz .LBB1_92
; %bb.87:                               ;   in Loop: Header=BB1_30 Depth=1
	global_load_dwordx2 v[26:27], v33, s[2:3] offset:24 sc0 sc1
	s_waitcnt vmcnt(0)
	buffer_inv sc0 sc1
	global_load_dwordx2 v[8:9], v33, s[2:3] offset:40
	global_load_dwordx2 v[24:25], v33, s[2:3]
	s_waitcnt vmcnt(1)
	v_and_b32_e32 v8, v8, v26
	v_and_b32_e32 v9, v9, v27
	v_mul_lo_u32 v9, v9, 24
	v_mul_hi_u32 v36, v8, 24
	v_add_u32_e32 v9, v36, v9
	v_mul_lo_u32 v8, v8, 24
	s_waitcnt vmcnt(0)
	v_lshl_add_u64 v[8:9], v[24:25], 0, v[8:9]
	global_load_dwordx2 v[24:25], v[8:9], off sc0 sc1
	s_waitcnt vmcnt(0)
	global_atomic_cmpswap_x2 v[8:9], v33, v[24:27], s[2:3] offset:24 sc0 sc1
	s_waitcnt vmcnt(0)
	buffer_inv sc0 sc1
	v_cmp_ne_u64_e32 vcc, v[8:9], v[26:27]
	s_and_saveexec_b64 s[10:11], vcc
	s_cbranch_execz .LBB1_91
; %bb.88:                               ;   in Loop: Header=BB1_30 Depth=1
	s_mov_b64 s[12:13], 0
.LBB1_89:                               ;   Parent Loop BB1_30 Depth=1
                                        ; =>  This Inner Loop Header: Depth=2
	s_sleep 1
	global_load_dwordx2 v[24:25], v33, s[2:3] offset:40
	global_load_dwordx2 v[36:37], v33, s[2:3]
	v_mov_b64_e32 v[26:27], v[8:9]
	s_waitcnt vmcnt(1)
	v_and_b32_e32 v8, v24, v26
	s_waitcnt vmcnt(0)
	v_mad_u64_u32 v[8:9], s[14:15], v8, 24, v[36:37]
	v_and_b32_e32 v25, v25, v27
	v_mov_b32_e32 v24, v9
	v_mad_u64_u32 v[24:25], s[14:15], v25, 24, v[24:25]
	v_mov_b32_e32 v9, v24
	global_load_dwordx2 v[24:25], v[8:9], off sc0 sc1
	s_waitcnt vmcnt(0)
	global_atomic_cmpswap_x2 v[8:9], v33, v[24:27], s[2:3] offset:24 sc0 sc1
	s_waitcnt vmcnt(0)
	buffer_inv sc0 sc1
	v_cmp_eq_u64_e32 vcc, v[8:9], v[26:27]
	s_or_b64 s[12:13], vcc, s[12:13]
	s_andn2_b64 exec, exec, s[12:13]
	s_cbranch_execnz .LBB1_89
; %bb.90:                               ;   in Loop: Header=BB1_30 Depth=1
	s_or_b64 exec, exec, s[12:13]
.LBB1_91:                               ;   in Loop: Header=BB1_30 Depth=1
	s_or_b64 exec, exec, s[10:11]
.LBB1_92:                               ;   in Loop: Header=BB1_30 Depth=1
	s_or_b64 exec, exec, s[6:7]
	global_load_dwordx2 v[36:37], v33, s[2:3] offset:40
	global_load_dwordx4 v[24:27], v33, s[2:3]
	v_readfirstlane_b32 s6, v8
	v_readfirstlane_b32 s7, v9
	s_mov_b64 s[10:11], exec
	s_waitcnt vmcnt(1)
	v_readfirstlane_b32 s12, v36
	v_readfirstlane_b32 s13, v37
	s_and_b64 s[12:13], s[6:7], s[12:13]
	s_mul_i32 s14, s13, 24
	s_mul_hi_u32 s15, s12, 24
	s_add_i32 s15, s15, s14
	s_mul_i32 s14, s12, 24
	s_waitcnt vmcnt(0)
	v_lshl_add_u64 v[36:37], v[24:25], 0, s[14:15]
	s_and_saveexec_b64 s[14:15], s[0:1]
	s_cbranch_execz .LBB1_94
; %bb.93:                               ;   in Loop: Header=BB1_30 Depth=1
	v_mov_b64_e32 v[8:9], s[10:11]
	global_store_dwordx4 v[36:37], v[8:11], off offset:8
.LBB1_94:                               ;   in Loop: Header=BB1_30 Depth=1
	s_or_b64 exec, exec, s[14:15]
	s_lshl_b64 s[10:11], s[12:13], 12
	v_lshl_add_u64 v[8:9], v[26:27], 0, s[10:11]
	v_or_b32_e32 v26, 0, v1
	v_cmp_lt_u64_e32 vcc, 56, v[28:29]
	v_or_b32_e32 v27, v0, v30
	v_readfirstlane_b32 s10, v8
	v_cndmask_b32_e32 v1, v26, v1, vcc
	v_lshl_add_u32 v26, v34, 2, 28
	v_cndmask_b32_e32 v0, v27, v0, vcc
	v_and_b32_e32 v26, 0x1e0, v26
	v_and_or_b32 v0, v0, s17, v26
	v_readfirstlane_b32 s11, v9
	s_nop 4
	global_store_dwordx4 v32, v[0:3], s[10:11]
	global_store_dwordx4 v32, v[12:15], s[10:11] offset:16
	global_store_dwordx4 v32, v[16:19], s[10:11] offset:32
	;; [unrolled: 1-line block ×3, first 2 shown]
	s_and_saveexec_b64 s[10:11], s[0:1]
	s_cbranch_execz .LBB1_102
; %bb.95:                               ;   in Loop: Header=BB1_30 Depth=1
	global_load_dwordx2 v[16:17], v33, s[2:3] offset:32 sc0 sc1
	global_load_dwordx2 v[0:1], v33, s[2:3] offset:40
	v_mov_b32_e32 v14, s6
	v_mov_b32_e32 v15, s7
	s_waitcnt vmcnt(0)
	v_readfirstlane_b32 s12, v0
	v_readfirstlane_b32 s13, v1
	s_and_b64 s[12:13], s[12:13], s[6:7]
	s_mul_i32 s13, s13, 24
	s_mul_hi_u32 s14, s12, 24
	s_mul_i32 s12, s12, 24
	s_add_i32 s13, s14, s13
	v_lshl_add_u64 v[12:13], v[24:25], 0, s[12:13]
	global_store_dwordx2 v[12:13], v[16:17], off
	buffer_wbl2 sc0 sc1
	s_waitcnt vmcnt(0)
	global_atomic_cmpswap_x2 v[2:3], v33, v[14:17], s[2:3] offset:32 sc0 sc1
	s_waitcnt vmcnt(0)
	v_cmp_ne_u64_e32 vcc, v[2:3], v[16:17]
	s_and_saveexec_b64 s[12:13], vcc
	s_cbranch_execz .LBB1_98
; %bb.96:                               ;   in Loop: Header=BB1_30 Depth=1
	s_mov_b64 s[14:15], 0
.LBB1_97:                               ;   Parent Loop BB1_30 Depth=1
                                        ; =>  This Inner Loop Header: Depth=2
	s_sleep 1
	global_store_dwordx2 v[12:13], v[2:3], off
	v_mov_b32_e32 v0, s6
	v_mov_b32_e32 v1, s7
	buffer_wbl2 sc0 sc1
	s_waitcnt vmcnt(0)
	global_atomic_cmpswap_x2 v[0:1], v33, v[0:3], s[2:3] offset:32 sc0 sc1
	s_waitcnt vmcnt(0)
	v_cmp_eq_u64_e32 vcc, v[0:1], v[2:3]
	s_or_b64 s[14:15], vcc, s[14:15]
	v_mov_b64_e32 v[2:3], v[0:1]
	s_andn2_b64 exec, exec, s[14:15]
	s_cbranch_execnz .LBB1_97
.LBB1_98:                               ;   in Loop: Header=BB1_30 Depth=1
	s_or_b64 exec, exec, s[12:13]
	global_load_dwordx2 v[0:1], v33, s[2:3] offset:16
	s_mov_b64 s[14:15], exec
	v_mbcnt_lo_u32_b32 v2, s14, 0
	v_mbcnt_hi_u32_b32 v2, s15, v2
	v_cmp_eq_u32_e32 vcc, 0, v2
	s_and_saveexec_b64 s[12:13], vcc
	s_cbranch_execz .LBB1_100
; %bb.99:                               ;   in Loop: Header=BB1_30 Depth=1
	s_bcnt1_i32_b64 s14, s[14:15]
	v_mov_b32_e32 v2, s14
	v_mov_b32_e32 v3, v33
	buffer_wbl2 sc0 sc1
	s_waitcnt vmcnt(0)
	global_atomic_add_x2 v[0:1], v[2:3], off offset:8 sc1
.LBB1_100:                              ;   in Loop: Header=BB1_30 Depth=1
	s_or_b64 exec, exec, s[12:13]
	s_waitcnt vmcnt(0)
	global_load_dwordx2 v[2:3], v[0:1], off offset:16
	s_waitcnt vmcnt(0)
	v_cmp_eq_u64_e32 vcc, 0, v[2:3]
	s_cbranch_vccnz .LBB1_102
; %bb.101:                              ;   in Loop: Header=BB1_30 Depth=1
	global_load_dword v0, v[0:1], off offset:24
	v_mov_b32_e32 v1, v33
	buffer_wbl2 sc0 sc1
	s_waitcnt vmcnt(0)
	global_store_dwordx2 v[2:3], v[0:1], off sc0 sc1
	v_and_b32_e32 v0, 0xffffff, v0
	s_nop 0
	v_readfirstlane_b32 m0, v0
	s_sendmsg sendmsg(MSG_INTERRUPT)
.LBB1_102:                              ;   in Loop: Header=BB1_30 Depth=1
	s_or_b64 exec, exec, s[10:11]
	v_lshl_add_u64 v[0:1], v[8:9], 0, v[32:33]
	s_branch .LBB1_106
.LBB1_103:                              ;   in Loop: Header=BB1_106 Depth=2
	s_or_b64 exec, exec, s[10:11]
	v_readfirstlane_b32 s10, v2
	s_cmp_eq_u32 s10, 0
	s_cbranch_scc1 .LBB1_105
; %bb.104:                              ;   in Loop: Header=BB1_106 Depth=2
	s_sleep 1
	s_cbranch_execnz .LBB1_106
	s_branch .LBB1_108
.LBB1_105:                              ;   in Loop: Header=BB1_30 Depth=1
	s_branch .LBB1_108
.LBB1_106:                              ;   Parent Loop BB1_30 Depth=1
                                        ; =>  This Inner Loop Header: Depth=2
	v_mov_b32_e32 v2, 1
	s_and_saveexec_b64 s[10:11], s[0:1]
	s_cbranch_execz .LBB1_103
; %bb.107:                              ;   in Loop: Header=BB1_106 Depth=2
	global_load_dword v2, v[36:37], off offset:20 sc0 sc1
	s_waitcnt vmcnt(0)
	buffer_inv sc0 sc1
	v_and_b32_e32 v2, 1, v2
	s_branch .LBB1_103
.LBB1_108:                              ;   in Loop: Header=BB1_30 Depth=1
	global_load_dwordx4 v[0:3], v[0:1], off
	s_and_saveexec_b64 s[10:11], s[0:1]
	s_cbranch_execz .LBB1_29
; %bb.109:                              ;   in Loop: Header=BB1_30 Depth=1
	global_load_dwordx2 v[2:3], v33, s[2:3] offset:40
	global_load_dwordx2 v[8:9], v33, s[2:3] offset:24 sc0 sc1
	global_load_dwordx2 v[16:17], v33, s[2:3]
	s_waitcnt vmcnt(2)
	v_lshl_add_u64 v[12:13], v[2:3], 0, 1
	v_lshl_add_u64 v[18:19], v[12:13], 0, s[6:7]
	v_cmp_eq_u64_e32 vcc, 0, v[18:19]
	s_waitcnt vmcnt(1)
	v_mov_b32_e32 v14, v8
	v_cndmask_b32_e32 v13, v19, v13, vcc
	v_cndmask_b32_e32 v12, v18, v12, vcc
	v_and_b32_e32 v3, v13, v3
	v_and_b32_e32 v2, v12, v2
	v_mul_lo_u32 v3, v3, 24
	v_mul_hi_u32 v15, v2, 24
	v_mul_lo_u32 v2, v2, 24
	v_add_u32_e32 v3, v15, v3
	s_waitcnt vmcnt(0)
	v_lshl_add_u64 v[2:3], v[16:17], 0, v[2:3]
	global_store_dwordx2 v[2:3], v[8:9], off
	v_mov_b32_e32 v15, v9
	buffer_wbl2 sc0 sc1
	s_waitcnt vmcnt(0)
	global_atomic_cmpswap_x2 v[14:15], v33, v[12:15], s[2:3] offset:24 sc0 sc1
	s_waitcnt vmcnt(0)
	v_cmp_ne_u64_e32 vcc, v[14:15], v[8:9]
	s_and_b64 exec, exec, vcc
	s_cbranch_execz .LBB1_29
; %bb.110:                              ;   in Loop: Header=BB1_30 Depth=1
	s_mov_b64 s[0:1], 0
.LBB1_111:                              ;   Parent Loop BB1_30 Depth=1
                                        ; =>  This Inner Loop Header: Depth=2
	s_sleep 1
	global_store_dwordx2 v[2:3], v[14:15], off
	buffer_wbl2 sc0 sc1
	s_waitcnt vmcnt(0)
	global_atomic_cmpswap_x2 v[8:9], v33, v[12:15], s[2:3] offset:24 sc0 sc1
	s_waitcnt vmcnt(0)
	v_cmp_eq_u64_e32 vcc, v[8:9], v[14:15]
	s_or_b64 s[0:1], vcc, s[0:1]
	v_mov_b64_e32 v[14:15], v[8:9]
	s_andn2_b64 exec, exec, s[0:1]
	s_cbranch_execnz .LBB1_111
	s_branch .LBB1_29
.LBB1_112:
                                        ; implicit-def: $vgpr0_vgpr1
	s_cbranch_execnz .LBB1_114
	s_branch .LBB1_140
.LBB1_113:
	s_or_b64 exec, exec, s[4:5]
	s_branch .LBB1_140
.LBB1_114:
	v_readfirstlane_b32 s0, v38
	v_mov_b64_e32 v[8:9], 0
	s_nop 0
	v_cmp_eq_u32_e64 s[0:1], s0, v38
	s_and_saveexec_b64 s[4:5], s[0:1]
	s_cbranch_execz .LBB1_120
; %bb.115:
	s_waitcnt vmcnt(0)
	v_mov_b32_e32 v0, 0
	global_load_dwordx2 v[10:11], v0, s[2:3] offset:24 sc0 sc1
	s_waitcnt vmcnt(0)
	buffer_inv sc0 sc1
	global_load_dwordx2 v[2:3], v0, s[2:3] offset:40
	global_load_dwordx2 v[8:9], v0, s[2:3]
	s_waitcnt vmcnt(1)
	v_and_b32_e32 v1, v2, v10
	v_and_b32_e32 v2, v3, v11
	v_mul_lo_u32 v2, v2, 24
	v_mul_hi_u32 v3, v1, 24
	v_add_u32_e32 v3, v3, v2
	v_mul_lo_u32 v2, v1, 24
	s_waitcnt vmcnt(0)
	v_lshl_add_u64 v[2:3], v[8:9], 0, v[2:3]
	global_load_dwordx2 v[8:9], v[2:3], off sc0 sc1
	s_waitcnt vmcnt(0)
	global_atomic_cmpswap_x2 v[8:9], v0, v[8:11], s[2:3] offset:24 sc0 sc1
	s_waitcnt vmcnt(0)
	buffer_inv sc0 sc1
	v_cmp_ne_u64_e32 vcc, v[8:9], v[10:11]
	s_and_saveexec_b64 s[6:7], vcc
	s_cbranch_execz .LBB1_119
; %bb.116:
	s_mov_b64 s[10:11], 0
.LBB1_117:                              ; =>This Inner Loop Header: Depth=1
	s_sleep 1
	global_load_dwordx2 v[2:3], v0, s[2:3] offset:40
	global_load_dwordx2 v[12:13], v0, s[2:3]
	v_mov_b64_e32 v[10:11], v[8:9]
	s_waitcnt vmcnt(1)
	v_and_b32_e32 v2, v2, v10
	v_and_b32_e32 v1, v3, v11
	s_waitcnt vmcnt(0)
	v_mad_u64_u32 v[2:3], s[12:13], v2, 24, v[12:13]
	v_mov_b32_e32 v8, v3
	v_mad_u64_u32 v[8:9], s[12:13], v1, 24, v[8:9]
	v_mov_b32_e32 v3, v8
	global_load_dwordx2 v[8:9], v[2:3], off sc0 sc1
	s_waitcnt vmcnt(0)
	global_atomic_cmpswap_x2 v[8:9], v0, v[8:11], s[2:3] offset:24 sc0 sc1
	s_waitcnt vmcnt(0)
	buffer_inv sc0 sc1
	v_cmp_eq_u64_e32 vcc, v[8:9], v[10:11]
	s_or_b64 s[10:11], vcc, s[10:11]
	s_andn2_b64 exec, exec, s[10:11]
	s_cbranch_execnz .LBB1_117
; %bb.118:
	s_or_b64 exec, exec, s[10:11]
.LBB1_119:
	s_or_b64 exec, exec, s[6:7]
.LBB1_120:
	s_or_b64 exec, exec, s[4:5]
	v_mov_b32_e32 v33, 0
	global_load_dwordx2 v[10:11], v33, s[2:3] offset:40
	global_load_dwordx4 v[0:3], v33, s[2:3]
	v_readfirstlane_b32 s4, v8
	v_readfirstlane_b32 s5, v9
	s_mov_b64 s[6:7], exec
	s_waitcnt vmcnt(1)
	v_readfirstlane_b32 s10, v10
	v_readfirstlane_b32 s11, v11
	s_and_b64 s[10:11], s[4:5], s[10:11]
	s_mul_i32 s12, s11, 24
	s_mul_hi_u32 s13, s10, 24
	s_add_i32 s13, s13, s12
	s_mul_i32 s12, s10, 24
	s_waitcnt vmcnt(0)
	v_lshl_add_u64 v[10:11], v[0:1], 0, s[12:13]
	s_and_saveexec_b64 s[12:13], s[0:1]
	s_cbranch_execz .LBB1_122
; %bb.121:
	v_mov_b64_e32 v[12:13], s[6:7]
	v_mov_b32_e32 v14, 2
	v_mov_b32_e32 v15, 1
	global_store_dwordx4 v[10:11], v[12:15], off offset:8
.LBB1_122:
	s_or_b64 exec, exec, s[12:13]
	s_lshl_b64 s[6:7], s[10:11], 12
	v_lshl_add_u64 v[12:13], v[2:3], 0, s[6:7]
	s_movk_i32 s6, 0xff1f
	s_mov_b32 s12, 0
	v_and_or_b32 v6, v6, s6, 32
	v_mov_b32_e32 v8, v33
	v_mov_b32_e32 v9, v33
	v_readfirstlane_b32 s6, v12
	v_readfirstlane_b32 s7, v13
	s_mov_b32 s13, s12
	s_mov_b32 s14, s12
	;; [unrolled: 1-line block ×3, first 2 shown]
	s_nop 1
	global_store_dwordx4 v32, v[6:9], s[6:7]
	s_nop 1
	v_mov_b64_e32 v[6:7], s[12:13]
	v_mov_b64_e32 v[8:9], s[14:15]
	global_store_dwordx4 v32, v[6:9], s[6:7] offset:16
	global_store_dwordx4 v32, v[6:9], s[6:7] offset:32
	;; [unrolled: 1-line block ×3, first 2 shown]
	s_and_saveexec_b64 s[6:7], s[0:1]
	s_cbranch_execz .LBB1_130
; %bb.123:
	v_mov_b32_e32 v8, 0
	global_load_dwordx2 v[16:17], v8, s[2:3] offset:32 sc0 sc1
	global_load_dwordx2 v[2:3], v8, s[2:3] offset:40
	v_mov_b32_e32 v14, s4
	v_mov_b32_e32 v15, s5
	s_waitcnt vmcnt(0)
	v_readfirstlane_b32 s10, v2
	v_readfirstlane_b32 s11, v3
	s_and_b64 s[10:11], s[10:11], s[4:5]
	s_mul_i32 s11, s11, 24
	s_mul_hi_u32 s12, s10, 24
	s_mul_i32 s10, s10, 24
	s_add_i32 s11, s12, s11
	v_lshl_add_u64 v[6:7], v[0:1], 0, s[10:11]
	global_store_dwordx2 v[6:7], v[16:17], off
	buffer_wbl2 sc0 sc1
	s_waitcnt vmcnt(0)
	global_atomic_cmpswap_x2 v[2:3], v8, v[14:17], s[2:3] offset:32 sc0 sc1
	s_waitcnt vmcnt(0)
	v_cmp_ne_u64_e32 vcc, v[2:3], v[16:17]
	s_and_saveexec_b64 s[10:11], vcc
	s_cbranch_execz .LBB1_126
; %bb.124:
	s_mov_b64 s[12:13], 0
.LBB1_125:                              ; =>This Inner Loop Header: Depth=1
	s_sleep 1
	global_store_dwordx2 v[6:7], v[2:3], off
	v_mov_b32_e32 v0, s4
	v_mov_b32_e32 v1, s5
	buffer_wbl2 sc0 sc1
	s_waitcnt vmcnt(0)
	global_atomic_cmpswap_x2 v[0:1], v8, v[0:3], s[2:3] offset:32 sc0 sc1
	s_waitcnt vmcnt(0)
	v_cmp_eq_u64_e32 vcc, v[0:1], v[2:3]
	s_or_b64 s[12:13], vcc, s[12:13]
	v_mov_b64_e32 v[2:3], v[0:1]
	s_andn2_b64 exec, exec, s[12:13]
	s_cbranch_execnz .LBB1_125
.LBB1_126:
	s_or_b64 exec, exec, s[10:11]
	v_mov_b32_e32 v3, 0
	global_load_dwordx2 v[0:1], v3, s[2:3] offset:16
	s_mov_b64 s[10:11], exec
	v_mbcnt_lo_u32_b32 v2, s10, 0
	v_mbcnt_hi_u32_b32 v2, s11, v2
	v_cmp_eq_u32_e32 vcc, 0, v2
	s_and_saveexec_b64 s[12:13], vcc
	s_cbranch_execz .LBB1_128
; %bb.127:
	s_bcnt1_i32_b64 s10, s[10:11]
	v_mov_b32_e32 v2, s10
	buffer_wbl2 sc0 sc1
	s_waitcnt vmcnt(0)
	global_atomic_add_x2 v[0:1], v[2:3], off offset:8 sc1
.LBB1_128:
	s_or_b64 exec, exec, s[12:13]
	s_waitcnt vmcnt(0)
	global_load_dwordx2 v[2:3], v[0:1], off offset:16
	s_waitcnt vmcnt(0)
	v_cmp_eq_u64_e32 vcc, 0, v[2:3]
	s_cbranch_vccnz .LBB1_130
; %bb.129:
	global_load_dword v0, v[0:1], off offset:24
	v_mov_b32_e32 v1, 0
	buffer_wbl2 sc0 sc1
	s_waitcnt vmcnt(0)
	global_store_dwordx2 v[2:3], v[0:1], off sc0 sc1
	v_and_b32_e32 v0, 0xffffff, v0
	s_nop 0
	v_readfirstlane_b32 m0, v0
	s_sendmsg sendmsg(MSG_INTERRUPT)
.LBB1_130:
	s_or_b64 exec, exec, s[6:7]
	v_lshl_add_u64 v[0:1], v[12:13], 0, v[32:33]
	s_branch .LBB1_134
.LBB1_131:                              ;   in Loop: Header=BB1_134 Depth=1
	s_or_b64 exec, exec, s[6:7]
	v_readfirstlane_b32 s6, v2
	s_cmp_eq_u32 s6, 0
	s_cbranch_scc1 .LBB1_133
; %bb.132:                              ;   in Loop: Header=BB1_134 Depth=1
	s_sleep 1
	s_cbranch_execnz .LBB1_134
	s_branch .LBB1_136
.LBB1_133:
	s_branch .LBB1_136
.LBB1_134:                              ; =>This Inner Loop Header: Depth=1
	v_mov_b32_e32 v2, 1
	s_and_saveexec_b64 s[6:7], s[0:1]
	s_cbranch_execz .LBB1_131
; %bb.135:                              ;   in Loop: Header=BB1_134 Depth=1
	global_load_dword v2, v[10:11], off offset:20 sc0 sc1
	s_waitcnt vmcnt(0)
	buffer_inv sc0 sc1
	v_and_b32_e32 v2, 1, v2
	s_branch .LBB1_131
.LBB1_136:
	global_load_dwordx2 v[0:1], v[0:1], off
	s_and_saveexec_b64 s[6:7], s[0:1]
	s_cbranch_execz .LBB1_139
; %bb.137:
	v_mov_b32_e32 v10, 0
	global_load_dwordx2 v[2:3], v10, s[2:3] offset:40
	global_load_dwordx2 v[12:13], v10, s[2:3] offset:24 sc0 sc1
	global_load_dwordx2 v[14:15], v10, s[2:3]
	s_mov_b64 s[0:1], 0
	s_waitcnt vmcnt(2)
	v_lshl_add_u64 v[6:7], v[2:3], 0, 1
	v_lshl_add_u64 v[16:17], v[6:7], 0, s[4:5]
	v_cmp_eq_u64_e32 vcc, 0, v[16:17]
	s_waitcnt vmcnt(1)
	v_mov_b32_e32 v8, v12
	v_cndmask_b32_e32 v7, v17, v7, vcc
	v_cndmask_b32_e32 v6, v16, v6, vcc
	v_and_b32_e32 v3, v7, v3
	v_and_b32_e32 v2, v6, v2
	v_mul_lo_u32 v3, v3, 24
	v_mul_hi_u32 v9, v2, 24
	v_mul_lo_u32 v2, v2, 24
	v_add_u32_e32 v3, v9, v3
	s_waitcnt vmcnt(0)
	v_lshl_add_u64 v[2:3], v[14:15], 0, v[2:3]
	global_store_dwordx2 v[2:3], v[12:13], off
	v_mov_b32_e32 v9, v13
	buffer_wbl2 sc0 sc1
	s_waitcnt vmcnt(0)
	global_atomic_cmpswap_x2 v[8:9], v10, v[6:9], s[2:3] offset:24 sc0 sc1
	s_waitcnt vmcnt(0)
	v_cmp_ne_u64_e32 vcc, v[8:9], v[12:13]
	s_and_b64 exec, exec, vcc
	s_cbranch_execz .LBB1_139
.LBB1_138:                              ; =>This Inner Loop Header: Depth=1
	s_sleep 1
	global_store_dwordx2 v[2:3], v[8:9], off
	buffer_wbl2 sc0 sc1
	s_waitcnt vmcnt(0)
	global_atomic_cmpswap_x2 v[12:13], v10, v[6:9], s[2:3] offset:24 sc0 sc1
	s_waitcnt vmcnt(0)
	v_cmp_eq_u64_e32 vcc, v[12:13], v[8:9]
	s_or_b64 s[0:1], vcc, s[0:1]
	v_mov_b64_e32 v[8:9], v[12:13]
	s_andn2_b64 exec, exec, s[0:1]
	s_cbranch_execnz .LBB1_138
.LBB1_139:
	s_or_b64 exec, exec, s[6:7]
.LBB1_140:
	s_getpc_b64 s[4:5]
	s_add_u32 s4, s4, .str.2@rel32@lo+4
	s_addc_u32 s5, s5, .str.2@rel32@hi+12
	s_cmp_lg_u64 s[4:5], 0
	s_cbranch_scc0 .LBB1_224
; %bb.141:
	s_getpc_b64 s[0:1]
	s_add_u32 s0, s0, .str.2@rel32@lo+80
	s_addc_u32 s1, s1, .str.2@rel32@hi+88
	s_sub_i32 s6, s0, s4
	s_ashr_i32 s7, s6, 31
	s_waitcnt vmcnt(0)
	v_and_b32_e32 v2, 2, v0
	v_mov_b32_e32 v35, 0
	v_and_b32_e32 v6, -3, v0
	v_mov_b32_e32 v7, v1
	v_mov_b32_e32 v10, 2
	v_mov_b32_e32 v11, 1
	s_branch .LBB1_143
.LBB1_142:                              ;   in Loop: Header=BB1_143 Depth=1
	s_or_b64 exec, exec, s[14:15]
	s_sub_u32 s6, s6, s10
	s_subb_u32 s7, s7, s11
	s_add_u32 s4, s4, s10
	s_addc_u32 s5, s5, s11
	s_cmp_lg_u64 s[6:7], 0
	s_cbranch_scc0 .LBB1_225
.LBB1_143:                              ; =>This Loop Header: Depth=1
                                        ;     Child Loop BB1_146 Depth 2
                                        ;     Child Loop BB1_153 Depth 2
	;; [unrolled: 1-line block ×11, first 2 shown]
	v_cmp_lt_u64_e64 s[0:1], s[6:7], 56
	s_and_b64 s[0:1], s[0:1], exec
	v_cmp_gt_u64_e64 s[0:1], s[6:7], 7
	s_cselect_b32 s11, s7, 0
	s_cselect_b32 s10, s6, 56
	s_and_b64 vcc, exec, s[0:1]
	s_cbranch_vccnz .LBB1_148
; %bb.144:                              ;   in Loop: Header=BB1_143 Depth=1
	s_mov_b64 s[0:1], 0
	s_cmp_eq_u64 s[6:7], 0
	v_mov_b64_e32 v[14:15], 0
	s_cbranch_scc1 .LBB1_147
; %bb.145:                              ;   in Loop: Header=BB1_143 Depth=1
	s_lshl_b64 s[12:13], s[10:11], 3
	s_mov_b64 s[14:15], 0
	v_mov_b64_e32 v[14:15], 0
	s_mov_b64 s[16:17], s[4:5]
.LBB1_146:                              ;   Parent Loop BB1_143 Depth=1
                                        ; =>  This Inner Loop Header: Depth=2
	global_load_ubyte v3, v35, s[16:17]
	s_waitcnt vmcnt(0)
	v_and_b32_e32 v34, 0xffff, v3
	v_lshlrev_b64 v[8:9], s14, v[34:35]
	s_add_u32 s14, s14, 8
	s_addc_u32 s15, s15, 0
	s_add_u32 s16, s16, 1
	s_addc_u32 s17, s17, 0
	v_or_b32_e32 v14, v8, v14
	s_cmp_lg_u32 s12, s14
	v_or_b32_e32 v15, v9, v15
	s_cbranch_scc1 .LBB1_146
.LBB1_147:                              ;   in Loop: Header=BB1_143 Depth=1
	s_mov_b32 s16, 0
	s_andn2_b64 vcc, exec, s[0:1]
	s_mov_b64 s[0:1], s[4:5]
	s_cbranch_vccz .LBB1_149
	s_branch .LBB1_150
.LBB1_148:                              ;   in Loop: Header=BB1_143 Depth=1
                                        ; implicit-def: $vgpr14_vgpr15
                                        ; implicit-def: $sgpr16
	s_mov_b64 s[0:1], s[4:5]
.LBB1_149:                              ;   in Loop: Header=BB1_143 Depth=1
	global_load_dwordx2 v[14:15], v35, s[4:5]
	s_add_i32 s16, s10, -8
	s_add_u32 s0, s4, 8
	s_addc_u32 s1, s5, 0
.LBB1_150:                              ;   in Loop: Header=BB1_143 Depth=1
	s_cmp_gt_u32 s16, 7
	s_cbranch_scc1 .LBB1_154
; %bb.151:                              ;   in Loop: Header=BB1_143 Depth=1
	s_cmp_eq_u32 s16, 0
	s_cbranch_scc1 .LBB1_155
; %bb.152:                              ;   in Loop: Header=BB1_143 Depth=1
	s_mov_b64 s[12:13], 0
	v_mov_b64_e32 v[16:17], 0
	s_mov_b64 s[14:15], 0
.LBB1_153:                              ;   Parent Loop BB1_143 Depth=1
                                        ; =>  This Inner Loop Header: Depth=2
	s_add_u32 s18, s0, s14
	s_addc_u32 s19, s1, s15
	global_load_ubyte v3, v35, s[18:19]
	s_add_u32 s14, s14, 1
	s_addc_u32 s15, s15, 0
	s_waitcnt vmcnt(0)
	v_and_b32_e32 v34, 0xffff, v3
	v_lshlrev_b64 v[8:9], s12, v[34:35]
	s_add_u32 s12, s12, 8
	s_addc_u32 s13, s13, 0
	v_or_b32_e32 v16, v8, v16
	s_cmp_lg_u32 s16, s14
	v_or_b32_e32 v17, v9, v17
	s_cbranch_scc1 .LBB1_153
	s_branch .LBB1_156
.LBB1_154:                              ;   in Loop: Header=BB1_143 Depth=1
                                        ; implicit-def: $vgpr16_vgpr17
                                        ; implicit-def: $sgpr17
	s_branch .LBB1_157
.LBB1_155:                              ;   in Loop: Header=BB1_143 Depth=1
	v_mov_b64_e32 v[16:17], 0
.LBB1_156:                              ;   in Loop: Header=BB1_143 Depth=1
	s_mov_b32 s17, 0
	s_cbranch_execnz .LBB1_158
.LBB1_157:                              ;   in Loop: Header=BB1_143 Depth=1
	global_load_dwordx2 v[16:17], v35, s[0:1]
	s_add_i32 s17, s16, -8
	s_add_u32 s0, s0, 8
	s_addc_u32 s1, s1, 0
.LBB1_158:                              ;   in Loop: Header=BB1_143 Depth=1
	s_cmp_gt_u32 s17, 7
	s_cbranch_scc1 .LBB1_162
; %bb.159:                              ;   in Loop: Header=BB1_143 Depth=1
	s_cmp_eq_u32 s17, 0
	s_cbranch_scc1 .LBB1_163
; %bb.160:                              ;   in Loop: Header=BB1_143 Depth=1
	s_mov_b64 s[12:13], 0
	v_mov_b64_e32 v[18:19], 0
	s_mov_b64 s[14:15], 0
.LBB1_161:                              ;   Parent Loop BB1_143 Depth=1
                                        ; =>  This Inner Loop Header: Depth=2
	s_add_u32 s18, s0, s14
	s_addc_u32 s19, s1, s15
	global_load_ubyte v3, v35, s[18:19]
	s_add_u32 s14, s14, 1
	s_addc_u32 s15, s15, 0
	s_waitcnt vmcnt(0)
	v_and_b32_e32 v34, 0xffff, v3
	v_lshlrev_b64 v[8:9], s12, v[34:35]
	s_add_u32 s12, s12, 8
	s_addc_u32 s13, s13, 0
	v_or_b32_e32 v18, v8, v18
	s_cmp_lg_u32 s17, s14
	v_or_b32_e32 v19, v9, v19
	s_cbranch_scc1 .LBB1_161
	s_branch .LBB1_164
.LBB1_162:                              ;   in Loop: Header=BB1_143 Depth=1
                                        ; implicit-def: $sgpr16
	s_branch .LBB1_165
.LBB1_163:                              ;   in Loop: Header=BB1_143 Depth=1
	v_mov_b64_e32 v[18:19], 0
.LBB1_164:                              ;   in Loop: Header=BB1_143 Depth=1
	s_mov_b32 s16, 0
	s_cbranch_execnz .LBB1_166
.LBB1_165:                              ;   in Loop: Header=BB1_143 Depth=1
	global_load_dwordx2 v[18:19], v35, s[0:1]
	s_add_i32 s16, s17, -8
	s_add_u32 s0, s0, 8
	s_addc_u32 s1, s1, 0
.LBB1_166:                              ;   in Loop: Header=BB1_143 Depth=1
	s_cmp_gt_u32 s16, 7
	s_cbranch_scc1 .LBB1_170
; %bb.167:                              ;   in Loop: Header=BB1_143 Depth=1
	s_cmp_eq_u32 s16, 0
	s_cbranch_scc1 .LBB1_171
; %bb.168:                              ;   in Loop: Header=BB1_143 Depth=1
	s_mov_b64 s[12:13], 0
	v_mov_b64_e32 v[20:21], 0
	s_mov_b64 s[14:15], 0
.LBB1_169:                              ;   Parent Loop BB1_143 Depth=1
                                        ; =>  This Inner Loop Header: Depth=2
	s_add_u32 s18, s0, s14
	s_addc_u32 s19, s1, s15
	global_load_ubyte v3, v35, s[18:19]
	s_add_u32 s14, s14, 1
	s_addc_u32 s15, s15, 0
	s_waitcnt vmcnt(0)
	v_and_b32_e32 v34, 0xffff, v3
	v_lshlrev_b64 v[8:9], s12, v[34:35]
	s_add_u32 s12, s12, 8
	s_addc_u32 s13, s13, 0
	v_or_b32_e32 v20, v8, v20
	s_cmp_lg_u32 s16, s14
	v_or_b32_e32 v21, v9, v21
	s_cbranch_scc1 .LBB1_169
	s_branch .LBB1_172
.LBB1_170:                              ;   in Loop: Header=BB1_143 Depth=1
                                        ; implicit-def: $vgpr20_vgpr21
                                        ; implicit-def: $sgpr17
	s_branch .LBB1_173
.LBB1_171:                              ;   in Loop: Header=BB1_143 Depth=1
	v_mov_b64_e32 v[20:21], 0
.LBB1_172:                              ;   in Loop: Header=BB1_143 Depth=1
	s_mov_b32 s17, 0
	s_cbranch_execnz .LBB1_174
.LBB1_173:                              ;   in Loop: Header=BB1_143 Depth=1
	global_load_dwordx2 v[20:21], v35, s[0:1]
	s_add_i32 s17, s16, -8
	s_add_u32 s0, s0, 8
	s_addc_u32 s1, s1, 0
.LBB1_174:                              ;   in Loop: Header=BB1_143 Depth=1
	s_cmp_gt_u32 s17, 7
	s_cbranch_scc1 .LBB1_178
; %bb.175:                              ;   in Loop: Header=BB1_143 Depth=1
	s_cmp_eq_u32 s17, 0
	s_cbranch_scc1 .LBB1_179
; %bb.176:                              ;   in Loop: Header=BB1_143 Depth=1
	s_mov_b64 s[12:13], 0
	v_mov_b64_e32 v[22:23], 0
	s_mov_b64 s[14:15], 0
.LBB1_177:                              ;   Parent Loop BB1_143 Depth=1
                                        ; =>  This Inner Loop Header: Depth=2
	s_add_u32 s18, s0, s14
	s_addc_u32 s19, s1, s15
	global_load_ubyte v3, v35, s[18:19]
	s_add_u32 s14, s14, 1
	s_addc_u32 s15, s15, 0
	s_waitcnt vmcnt(0)
	v_and_b32_e32 v34, 0xffff, v3
	v_lshlrev_b64 v[8:9], s12, v[34:35]
	s_add_u32 s12, s12, 8
	s_addc_u32 s13, s13, 0
	v_or_b32_e32 v22, v8, v22
	s_cmp_lg_u32 s17, s14
	v_or_b32_e32 v23, v9, v23
	s_cbranch_scc1 .LBB1_177
	s_branch .LBB1_180
.LBB1_178:                              ;   in Loop: Header=BB1_143 Depth=1
                                        ; implicit-def: $sgpr16
	s_branch .LBB1_181
.LBB1_179:                              ;   in Loop: Header=BB1_143 Depth=1
	v_mov_b64_e32 v[22:23], 0
.LBB1_180:                              ;   in Loop: Header=BB1_143 Depth=1
	s_mov_b32 s16, 0
	s_cbranch_execnz .LBB1_182
.LBB1_181:                              ;   in Loop: Header=BB1_143 Depth=1
	global_load_dwordx2 v[22:23], v35, s[0:1]
	s_add_i32 s16, s17, -8
	s_add_u32 s0, s0, 8
	s_addc_u32 s1, s1, 0
.LBB1_182:                              ;   in Loop: Header=BB1_143 Depth=1
	s_cmp_gt_u32 s16, 7
	s_cbranch_scc1 .LBB1_186
; %bb.183:                              ;   in Loop: Header=BB1_143 Depth=1
	s_cmp_eq_u32 s16, 0
	s_cbranch_scc1 .LBB1_187
; %bb.184:                              ;   in Loop: Header=BB1_143 Depth=1
	s_mov_b64 s[12:13], 0
	v_mov_b64_e32 v[24:25], 0
	s_mov_b64 s[14:15], 0
.LBB1_185:                              ;   Parent Loop BB1_143 Depth=1
                                        ; =>  This Inner Loop Header: Depth=2
	s_add_u32 s18, s0, s14
	s_addc_u32 s19, s1, s15
	global_load_ubyte v3, v35, s[18:19]
	s_add_u32 s14, s14, 1
	s_addc_u32 s15, s15, 0
	s_waitcnt vmcnt(0)
	v_and_b32_e32 v34, 0xffff, v3
	v_lshlrev_b64 v[8:9], s12, v[34:35]
	s_add_u32 s12, s12, 8
	s_addc_u32 s13, s13, 0
	v_or_b32_e32 v24, v8, v24
	s_cmp_lg_u32 s16, s14
	v_or_b32_e32 v25, v9, v25
	s_cbranch_scc1 .LBB1_185
	s_branch .LBB1_188
.LBB1_186:                              ;   in Loop: Header=BB1_143 Depth=1
                                        ; implicit-def: $vgpr24_vgpr25
                                        ; implicit-def: $sgpr17
	s_branch .LBB1_189
.LBB1_187:                              ;   in Loop: Header=BB1_143 Depth=1
	v_mov_b64_e32 v[24:25], 0
.LBB1_188:                              ;   in Loop: Header=BB1_143 Depth=1
	s_mov_b32 s17, 0
	s_cbranch_execnz .LBB1_190
.LBB1_189:                              ;   in Loop: Header=BB1_143 Depth=1
	global_load_dwordx2 v[24:25], v35, s[0:1]
	s_add_i32 s17, s16, -8
	s_add_u32 s0, s0, 8
	s_addc_u32 s1, s1, 0
.LBB1_190:                              ;   in Loop: Header=BB1_143 Depth=1
	s_cmp_gt_u32 s17, 7
	s_cbranch_scc1 .LBB1_194
; %bb.191:                              ;   in Loop: Header=BB1_143 Depth=1
	s_cmp_eq_u32 s17, 0
	s_cbranch_scc1 .LBB1_195
; %bb.192:                              ;   in Loop: Header=BB1_143 Depth=1
	s_mov_b64 s[12:13], 0
	v_mov_b64_e32 v[26:27], 0
	s_mov_b64 s[14:15], s[0:1]
.LBB1_193:                              ;   Parent Loop BB1_143 Depth=1
                                        ; =>  This Inner Loop Header: Depth=2
	global_load_ubyte v3, v35, s[14:15]
	s_add_i32 s17, s17, -1
	s_waitcnt vmcnt(0)
	v_and_b32_e32 v34, 0xffff, v3
	v_lshlrev_b64 v[8:9], s12, v[34:35]
	s_add_u32 s12, s12, 8
	s_addc_u32 s13, s13, 0
	s_add_u32 s14, s14, 1
	s_addc_u32 s15, s15, 0
	v_or_b32_e32 v26, v8, v26
	s_cmp_lg_u32 s17, 0
	v_or_b32_e32 v27, v9, v27
	s_cbranch_scc1 .LBB1_193
	s_branch .LBB1_196
.LBB1_194:                              ;   in Loop: Header=BB1_143 Depth=1
	s_branch .LBB1_197
.LBB1_195:                              ;   in Loop: Header=BB1_143 Depth=1
	v_mov_b64_e32 v[26:27], 0
.LBB1_196:                              ;   in Loop: Header=BB1_143 Depth=1
	s_cbranch_execnz .LBB1_198
.LBB1_197:                              ;   in Loop: Header=BB1_143 Depth=1
	global_load_dwordx2 v[26:27], v35, s[0:1]
.LBB1_198:                              ;   in Loop: Header=BB1_143 Depth=1
	v_readfirstlane_b32 s0, v38
	s_waitcnt vmcnt(0)
	v_mov_b64_e32 v[8:9], 0
	v_cmp_eq_u32_e64 s[0:1], s0, v38
	s_and_saveexec_b64 s[12:13], s[0:1]
	s_cbranch_execz .LBB1_204
; %bb.199:                              ;   in Loop: Header=BB1_143 Depth=1
	global_load_dwordx2 v[30:31], v35, s[2:3] offset:24 sc0 sc1
	s_waitcnt vmcnt(0)
	buffer_inv sc0 sc1
	global_load_dwordx2 v[8:9], v35, s[2:3] offset:40
	global_load_dwordx2 v[12:13], v35, s[2:3]
	s_waitcnt vmcnt(1)
	v_and_b32_e32 v3, v8, v30
	v_and_b32_e32 v8, v9, v31
	v_mul_lo_u32 v8, v8, 24
	v_mul_hi_u32 v9, v3, 24
	v_add_u32_e32 v9, v9, v8
	v_mul_lo_u32 v8, v3, 24
	s_waitcnt vmcnt(0)
	v_lshl_add_u64 v[8:9], v[12:13], 0, v[8:9]
	global_load_dwordx2 v[28:29], v[8:9], off sc0 sc1
	s_waitcnt vmcnt(0)
	global_atomic_cmpswap_x2 v[8:9], v35, v[28:31], s[2:3] offset:24 sc0 sc1
	s_waitcnt vmcnt(0)
	buffer_inv sc0 sc1
	v_cmp_ne_u64_e32 vcc, v[8:9], v[30:31]
	s_and_saveexec_b64 s[14:15], vcc
	s_cbranch_execz .LBB1_203
; %bb.200:                              ;   in Loop: Header=BB1_143 Depth=1
	s_mov_b64 s[16:17], 0
.LBB1_201:                              ;   Parent Loop BB1_143 Depth=1
                                        ; =>  This Inner Loop Header: Depth=2
	s_sleep 1
	global_load_dwordx2 v[12:13], v35, s[2:3] offset:40
	global_load_dwordx2 v[28:29], v35, s[2:3]
	v_mov_b64_e32 v[30:31], v[8:9]
	s_waitcnt vmcnt(1)
	v_and_b32_e32 v8, v12, v30
	s_waitcnt vmcnt(0)
	v_mad_u64_u32 v[8:9], s[18:19], v8, 24, v[28:29]
	v_and_b32_e32 v3, v13, v31
	v_mov_b32_e32 v12, v9
	v_mad_u64_u32 v[12:13], s[18:19], v3, 24, v[12:13]
	v_mov_b32_e32 v9, v12
	global_load_dwordx2 v[28:29], v[8:9], off sc0 sc1
	s_waitcnt vmcnt(0)
	global_atomic_cmpswap_x2 v[8:9], v35, v[28:31], s[2:3] offset:24 sc0 sc1
	s_waitcnt vmcnt(0)
	buffer_inv sc0 sc1
	v_cmp_eq_u64_e32 vcc, v[8:9], v[30:31]
	s_or_b64 s[16:17], vcc, s[16:17]
	s_andn2_b64 exec, exec, s[16:17]
	s_cbranch_execnz .LBB1_201
; %bb.202:                              ;   in Loop: Header=BB1_143 Depth=1
	s_or_b64 exec, exec, s[16:17]
.LBB1_203:                              ;   in Loop: Header=BB1_143 Depth=1
	s_or_b64 exec, exec, s[14:15]
.LBB1_204:                              ;   in Loop: Header=BB1_143 Depth=1
	s_or_b64 exec, exec, s[12:13]
	global_load_dwordx2 v[12:13], v35, s[2:3] offset:40
	global_load_dwordx4 v[28:31], v35, s[2:3]
	v_readfirstlane_b32 s12, v8
	v_readfirstlane_b32 s13, v9
	s_mov_b64 s[14:15], exec
	s_waitcnt vmcnt(1)
	v_readfirstlane_b32 s16, v12
	v_readfirstlane_b32 s17, v13
	s_and_b64 s[16:17], s[12:13], s[16:17]
	s_mul_i32 s18, s17, 24
	s_mul_hi_u32 s19, s16, 24
	s_add_i32 s19, s19, s18
	s_mul_i32 s18, s16, 24
	s_waitcnt vmcnt(0)
	v_lshl_add_u64 v[36:37], v[28:29], 0, s[18:19]
	s_and_saveexec_b64 s[18:19], s[0:1]
	s_cbranch_execz .LBB1_206
; %bb.205:                              ;   in Loop: Header=BB1_143 Depth=1
	v_mov_b64_e32 v[8:9], s[14:15]
	global_store_dwordx4 v[36:37], v[8:11], off offset:8
.LBB1_206:                              ;   in Loop: Header=BB1_143 Depth=1
	s_or_b64 exec, exec, s[18:19]
	s_lshl_b64 s[14:15], s[16:17], 12
	v_lshl_add_u64 v[30:31], v[30:31], 0, s[14:15]
	v_or_b32_e32 v3, 0, v7
	v_or_b32_e32 v8, v6, v2
	v_cmp_gt_u64_e64 vcc, s[6:7], 56
	s_lshl_b32 s14, s10, 2
	s_add_i32 s14, s14, 28
	v_cndmask_b32_e32 v13, v3, v7, vcc
	v_cndmask_b32_e32 v3, v8, v6, vcc
	s_and_b32 s14, s14, 0x1e0
	v_and_b32_e32 v3, 0xffffff1f, v3
	v_or_b32_e32 v12, s14, v3
	v_readfirstlane_b32 s14, v30
	v_readfirstlane_b32 s15, v31
	s_nop 4
	global_store_dwordx4 v32, v[12:15], s[14:15]
	global_store_dwordx4 v32, v[16:19], s[14:15] offset:16
	global_store_dwordx4 v32, v[20:23], s[14:15] offset:32
	;; [unrolled: 1-line block ×3, first 2 shown]
	s_and_saveexec_b64 s[14:15], s[0:1]
	s_cbranch_execz .LBB1_214
; %bb.207:                              ;   in Loop: Header=BB1_143 Depth=1
	global_load_dwordx2 v[16:17], v35, s[2:3] offset:32 sc0 sc1
	global_load_dwordx2 v[6:7], v35, s[2:3] offset:40
	v_mov_b32_e32 v14, s12
	v_mov_b32_e32 v15, s13
	s_waitcnt vmcnt(0)
	v_readfirstlane_b32 s16, v6
	v_readfirstlane_b32 s17, v7
	s_and_b64 s[16:17], s[16:17], s[12:13]
	s_mul_i32 s17, s17, 24
	s_mul_hi_u32 s18, s16, 24
	s_mul_i32 s16, s16, 24
	s_add_i32 s17, s18, s17
	v_lshl_add_u64 v[12:13], v[28:29], 0, s[16:17]
	global_store_dwordx2 v[12:13], v[16:17], off
	buffer_wbl2 sc0 sc1
	s_waitcnt vmcnt(0)
	global_atomic_cmpswap_x2 v[8:9], v35, v[14:17], s[2:3] offset:32 sc0 sc1
	s_waitcnt vmcnt(0)
	v_cmp_ne_u64_e32 vcc, v[8:9], v[16:17]
	s_and_saveexec_b64 s[16:17], vcc
	s_cbranch_execz .LBB1_210
; %bb.208:                              ;   in Loop: Header=BB1_143 Depth=1
	s_mov_b64 s[18:19], 0
.LBB1_209:                              ;   Parent Loop BB1_143 Depth=1
                                        ; =>  This Inner Loop Header: Depth=2
	s_sleep 1
	global_store_dwordx2 v[12:13], v[8:9], off
	v_mov_b32_e32 v6, s12
	v_mov_b32_e32 v7, s13
	buffer_wbl2 sc0 sc1
	s_waitcnt vmcnt(0)
	global_atomic_cmpswap_x2 v[6:7], v35, v[6:9], s[2:3] offset:32 sc0 sc1
	s_waitcnt vmcnt(0)
	v_cmp_eq_u64_e32 vcc, v[6:7], v[8:9]
	s_or_b64 s[18:19], vcc, s[18:19]
	v_mov_b64_e32 v[8:9], v[6:7]
	s_andn2_b64 exec, exec, s[18:19]
	s_cbranch_execnz .LBB1_209
.LBB1_210:                              ;   in Loop: Header=BB1_143 Depth=1
	s_or_b64 exec, exec, s[16:17]
	global_load_dwordx2 v[6:7], v35, s[2:3] offset:16
	s_mov_b64 s[18:19], exec
	v_mbcnt_lo_u32_b32 v3, s18, 0
	v_mbcnt_hi_u32_b32 v3, s19, v3
	v_cmp_eq_u32_e32 vcc, 0, v3
	s_and_saveexec_b64 s[16:17], vcc
	s_cbranch_execz .LBB1_212
; %bb.211:                              ;   in Loop: Header=BB1_143 Depth=1
	s_bcnt1_i32_b64 s18, s[18:19]
	v_mov_b32_e32 v34, s18
	buffer_wbl2 sc0 sc1
	s_waitcnt vmcnt(0)
	global_atomic_add_x2 v[6:7], v[34:35], off offset:8 sc1
.LBB1_212:                              ;   in Loop: Header=BB1_143 Depth=1
	s_or_b64 exec, exec, s[16:17]
	s_waitcnt vmcnt(0)
	global_load_dwordx2 v[8:9], v[6:7], off offset:16
	s_waitcnt vmcnt(0)
	v_cmp_eq_u64_e32 vcc, 0, v[8:9]
	s_cbranch_vccnz .LBB1_214
; %bb.213:                              ;   in Loop: Header=BB1_143 Depth=1
	global_load_dword v34, v[6:7], off offset:24
	s_waitcnt vmcnt(0)
	v_and_b32_e32 v3, 0xffffff, v34
	s_nop 0
	v_readfirstlane_b32 m0, v3
	buffer_wbl2 sc0 sc1
	global_store_dwordx2 v[8:9], v[34:35], off sc0 sc1
	s_sendmsg sendmsg(MSG_INTERRUPT)
.LBB1_214:                              ;   in Loop: Header=BB1_143 Depth=1
	s_or_b64 exec, exec, s[14:15]
	v_mov_b32_e32 v33, v35
	v_lshl_add_u64 v[6:7], v[30:31], 0, v[32:33]
	s_branch .LBB1_218
.LBB1_215:                              ;   in Loop: Header=BB1_218 Depth=2
	s_or_b64 exec, exec, s[14:15]
	v_readfirstlane_b32 s14, v3
	s_cmp_eq_u32 s14, 0
	s_cbranch_scc1 .LBB1_217
; %bb.216:                              ;   in Loop: Header=BB1_218 Depth=2
	s_sleep 1
	s_cbranch_execnz .LBB1_218
	s_branch .LBB1_220
.LBB1_217:                              ;   in Loop: Header=BB1_143 Depth=1
	s_branch .LBB1_220
.LBB1_218:                              ;   Parent Loop BB1_143 Depth=1
                                        ; =>  This Inner Loop Header: Depth=2
	v_mov_b32_e32 v3, 1
	s_and_saveexec_b64 s[14:15], s[0:1]
	s_cbranch_execz .LBB1_215
; %bb.219:                              ;   in Loop: Header=BB1_218 Depth=2
	global_load_dword v3, v[36:37], off offset:20 sc0 sc1
	s_waitcnt vmcnt(0)
	buffer_inv sc0 sc1
	v_and_b32_e32 v3, 1, v3
	s_branch .LBB1_215
.LBB1_220:                              ;   in Loop: Header=BB1_143 Depth=1
	global_load_dwordx4 v[6:9], v[6:7], off
	s_and_saveexec_b64 s[14:15], s[0:1]
	s_cbranch_execz .LBB1_142
; %bb.221:                              ;   in Loop: Header=BB1_143 Depth=1
	global_load_dwordx2 v[8:9], v35, s[2:3] offset:40
	global_load_dwordx2 v[16:17], v35, s[2:3] offset:24 sc0 sc1
	global_load_dwordx2 v[18:19], v35, s[2:3]
	s_waitcnt vmcnt(2)
	v_lshl_add_u64 v[12:13], v[8:9], 0, 1
	v_lshl_add_u64 v[20:21], v[12:13], 0, s[12:13]
	v_cmp_eq_u64_e32 vcc, 0, v[20:21]
	s_waitcnt vmcnt(1)
	v_mov_b32_e32 v14, v16
	v_mov_b32_e32 v15, v17
	v_cndmask_b32_e32 v13, v21, v13, vcc
	v_cndmask_b32_e32 v12, v20, v12, vcc
	v_and_b32_e32 v3, v13, v9
	v_and_b32_e32 v8, v12, v8
	v_mul_lo_u32 v3, v3, 24
	v_mul_hi_u32 v9, v8, 24
	v_mul_lo_u32 v8, v8, 24
	v_add_u32_e32 v9, v9, v3
	s_waitcnt vmcnt(0)
	v_lshl_add_u64 v[8:9], v[18:19], 0, v[8:9]
	global_store_dwordx2 v[8:9], v[16:17], off
	buffer_wbl2 sc0 sc1
	s_waitcnt vmcnt(0)
	global_atomic_cmpswap_x2 v[14:15], v35, v[12:15], s[2:3] offset:24 sc0 sc1
	s_waitcnt vmcnt(0)
	v_cmp_ne_u64_e32 vcc, v[14:15], v[16:17]
	s_and_b64 exec, exec, vcc
	s_cbranch_execz .LBB1_142
; %bb.222:                              ;   in Loop: Header=BB1_143 Depth=1
	s_mov_b64 s[0:1], 0
.LBB1_223:                              ;   Parent Loop BB1_143 Depth=1
                                        ; =>  This Inner Loop Header: Depth=2
	s_sleep 1
	global_store_dwordx2 v[8:9], v[14:15], off
	buffer_wbl2 sc0 sc1
	s_waitcnt vmcnt(0)
	global_atomic_cmpswap_x2 v[16:17], v35, v[12:15], s[2:3] offset:24 sc0 sc1
	s_waitcnt vmcnt(0)
	v_cmp_eq_u64_e32 vcc, v[16:17], v[14:15]
	s_or_b64 s[0:1], vcc, s[0:1]
	v_mov_b64_e32 v[14:15], v[16:17]
	s_andn2_b64 exec, exec, s[0:1]
	s_cbranch_execnz .LBB1_223
	s_branch .LBB1_142
.LBB1_224:
                                        ; implicit-def: $vgpr6_vgpr7
	s_cbranch_execnz .LBB1_226
	s_branch .LBB1_252
.LBB1_225:
	s_branch .LBB1_252
.LBB1_226:
	v_readfirstlane_b32 s0, v38
	s_waitcnt vmcnt(0)
	v_mov_b64_e32 v[2:3], 0
	v_cmp_eq_u32_e64 s[0:1], s0, v38
	s_and_saveexec_b64 s[4:5], s[0:1]
	s_cbranch_execz .LBB1_232
; %bb.227:
	v_mov_b32_e32 v6, 0
	global_load_dwordx2 v[10:11], v6, s[2:3] offset:24 sc0 sc1
	s_waitcnt vmcnt(0)
	buffer_inv sc0 sc1
	global_load_dwordx2 v[2:3], v6, s[2:3] offset:40
	global_load_dwordx2 v[8:9], v6, s[2:3]
	s_waitcnt vmcnt(1)
	v_and_b32_e32 v2, v2, v10
	v_and_b32_e32 v3, v3, v11
	v_mul_lo_u32 v3, v3, 24
	v_mul_hi_u32 v7, v2, 24
	v_add_u32_e32 v3, v7, v3
	v_mul_lo_u32 v2, v2, 24
	s_waitcnt vmcnt(0)
	v_lshl_add_u64 v[2:3], v[8:9], 0, v[2:3]
	global_load_dwordx2 v[8:9], v[2:3], off sc0 sc1
	s_waitcnt vmcnt(0)
	global_atomic_cmpswap_x2 v[2:3], v6, v[8:11], s[2:3] offset:24 sc0 sc1
	s_waitcnt vmcnt(0)
	buffer_inv sc0 sc1
	v_cmp_ne_u64_e32 vcc, v[2:3], v[10:11]
	s_and_saveexec_b64 s[6:7], vcc
	s_cbranch_execz .LBB1_231
; %bb.228:
	s_mov_b64 s[10:11], 0
.LBB1_229:                              ; =>This Inner Loop Header: Depth=1
	s_sleep 1
	global_load_dwordx2 v[8:9], v6, s[2:3] offset:40
	global_load_dwordx2 v[12:13], v6, s[2:3]
	v_mov_b64_e32 v[10:11], v[2:3]
	s_waitcnt vmcnt(1)
	v_and_b32_e32 v2, v8, v10
	s_waitcnt vmcnt(0)
	v_mad_u64_u32 v[2:3], s[12:13], v2, 24, v[12:13]
	v_and_b32_e32 v7, v9, v11
	v_mov_b32_e32 v8, v3
	v_mad_u64_u32 v[8:9], s[12:13], v7, 24, v[8:9]
	v_mov_b32_e32 v3, v8
	global_load_dwordx2 v[8:9], v[2:3], off sc0 sc1
	s_waitcnt vmcnt(0)
	global_atomic_cmpswap_x2 v[2:3], v6, v[8:11], s[2:3] offset:24 sc0 sc1
	s_waitcnt vmcnt(0)
	buffer_inv sc0 sc1
	v_cmp_eq_u64_e32 vcc, v[2:3], v[10:11]
	s_or_b64 s[10:11], vcc, s[10:11]
	s_andn2_b64 exec, exec, s[10:11]
	s_cbranch_execnz .LBB1_229
; %bb.230:
	s_or_b64 exec, exec, s[10:11]
.LBB1_231:
	s_or_b64 exec, exec, s[6:7]
.LBB1_232:
	s_or_b64 exec, exec, s[4:5]
	v_mov_b32_e32 v33, 0
	global_load_dwordx2 v[10:11], v33, s[2:3] offset:40
	global_load_dwordx4 v[6:9], v33, s[2:3]
	v_readfirstlane_b32 s4, v2
	v_readfirstlane_b32 s5, v3
	s_mov_b64 s[6:7], exec
	s_waitcnt vmcnt(1)
	v_readfirstlane_b32 s10, v10
	v_readfirstlane_b32 s11, v11
	s_and_b64 s[10:11], s[4:5], s[10:11]
	s_mul_i32 s12, s11, 24
	s_mul_hi_u32 s13, s10, 24
	s_add_i32 s13, s13, s12
	s_mul_i32 s12, s10, 24
	s_waitcnt vmcnt(0)
	v_lshl_add_u64 v[10:11], v[6:7], 0, s[12:13]
	s_and_saveexec_b64 s[12:13], s[0:1]
	s_cbranch_execz .LBB1_234
; %bb.233:
	v_mov_b64_e32 v[12:13], s[6:7]
	v_mov_b32_e32 v14, 2
	v_mov_b32_e32 v15, 1
	global_store_dwordx4 v[10:11], v[12:15], off offset:8
.LBB1_234:
	s_or_b64 exec, exec, s[12:13]
	s_lshl_b64 s[6:7], s[10:11], 12
	v_lshl_add_u64 v[8:9], v[8:9], 0, s[6:7]
	s_movk_i32 s6, 0xff1f
	s_mov_b32 s12, 0
	v_and_or_b32 v0, v0, s6, 32
	v_mov_b32_e32 v2, v33
	v_mov_b32_e32 v3, v33
	v_readfirstlane_b32 s6, v8
	v_readfirstlane_b32 s7, v9
	s_mov_b32 s13, s12
	s_mov_b32 s14, s12
	;; [unrolled: 1-line block ×3, first 2 shown]
	s_nop 1
	global_store_dwordx4 v32, v[0:3], s[6:7]
	s_nop 1
	v_mov_b64_e32 v[0:1], s[12:13]
	v_mov_b64_e32 v[2:3], s[14:15]
	global_store_dwordx4 v32, v[0:3], s[6:7] offset:16
	global_store_dwordx4 v32, v[0:3], s[6:7] offset:32
	;; [unrolled: 1-line block ×3, first 2 shown]
	s_and_saveexec_b64 s[6:7], s[0:1]
	s_cbranch_execz .LBB1_242
; %bb.235:
	v_mov_b32_e32 v12, 0
	global_load_dwordx2 v[16:17], v12, s[2:3] offset:32 sc0 sc1
	global_load_dwordx2 v[0:1], v12, s[2:3] offset:40
	v_mov_b32_e32 v14, s4
	v_mov_b32_e32 v15, s5
	s_waitcnt vmcnt(0)
	v_readfirstlane_b32 s10, v0
	v_readfirstlane_b32 s11, v1
	s_and_b64 s[10:11], s[10:11], s[4:5]
	s_mul_i32 s11, s11, 24
	s_mul_hi_u32 s12, s10, 24
	s_mul_i32 s10, s10, 24
	s_add_i32 s11, s12, s11
	v_lshl_add_u64 v[6:7], v[6:7], 0, s[10:11]
	global_store_dwordx2 v[6:7], v[16:17], off
	buffer_wbl2 sc0 sc1
	s_waitcnt vmcnt(0)
	global_atomic_cmpswap_x2 v[2:3], v12, v[14:17], s[2:3] offset:32 sc0 sc1
	s_waitcnt vmcnt(0)
	v_cmp_ne_u64_e32 vcc, v[2:3], v[16:17]
	s_and_saveexec_b64 s[10:11], vcc
	s_cbranch_execz .LBB1_238
; %bb.236:
	s_mov_b64 s[12:13], 0
.LBB1_237:                              ; =>This Inner Loop Header: Depth=1
	s_sleep 1
	global_store_dwordx2 v[6:7], v[2:3], off
	v_mov_b32_e32 v0, s4
	v_mov_b32_e32 v1, s5
	buffer_wbl2 sc0 sc1
	s_waitcnt vmcnt(0)
	global_atomic_cmpswap_x2 v[0:1], v12, v[0:3], s[2:3] offset:32 sc0 sc1
	s_waitcnt vmcnt(0)
	v_cmp_eq_u64_e32 vcc, v[0:1], v[2:3]
	s_or_b64 s[12:13], vcc, s[12:13]
	v_mov_b64_e32 v[2:3], v[0:1]
	s_andn2_b64 exec, exec, s[12:13]
	s_cbranch_execnz .LBB1_237
.LBB1_238:
	s_or_b64 exec, exec, s[10:11]
	v_mov_b32_e32 v3, 0
	global_load_dwordx2 v[0:1], v3, s[2:3] offset:16
	s_mov_b64 s[10:11], exec
	v_mbcnt_lo_u32_b32 v2, s10, 0
	v_mbcnt_hi_u32_b32 v2, s11, v2
	v_cmp_eq_u32_e32 vcc, 0, v2
	s_and_saveexec_b64 s[12:13], vcc
	s_cbranch_execz .LBB1_240
; %bb.239:
	s_bcnt1_i32_b64 s10, s[10:11]
	v_mov_b32_e32 v2, s10
	buffer_wbl2 sc0 sc1
	s_waitcnt vmcnt(0)
	global_atomic_add_x2 v[0:1], v[2:3], off offset:8 sc1
.LBB1_240:
	s_or_b64 exec, exec, s[12:13]
	s_waitcnt vmcnt(0)
	global_load_dwordx2 v[2:3], v[0:1], off offset:16
	s_waitcnt vmcnt(0)
	v_cmp_eq_u64_e32 vcc, 0, v[2:3]
	s_cbranch_vccnz .LBB1_242
; %bb.241:
	global_load_dword v0, v[0:1], off offset:24
	v_mov_b32_e32 v1, 0
	buffer_wbl2 sc0 sc1
	s_waitcnt vmcnt(0)
	global_store_dwordx2 v[2:3], v[0:1], off sc0 sc1
	v_and_b32_e32 v0, 0xffffff, v0
	s_nop 0
	v_readfirstlane_b32 m0, v0
	s_sendmsg sendmsg(MSG_INTERRUPT)
.LBB1_242:
	s_or_b64 exec, exec, s[6:7]
	v_lshl_add_u64 v[0:1], v[8:9], 0, v[32:33]
	s_branch .LBB1_246
.LBB1_243:                              ;   in Loop: Header=BB1_246 Depth=1
	s_or_b64 exec, exec, s[6:7]
	v_readfirstlane_b32 s6, v2
	s_cmp_eq_u32 s6, 0
	s_cbranch_scc1 .LBB1_245
; %bb.244:                              ;   in Loop: Header=BB1_246 Depth=1
	s_sleep 1
	s_cbranch_execnz .LBB1_246
	s_branch .LBB1_248
.LBB1_245:
	s_branch .LBB1_248
.LBB1_246:                              ; =>This Inner Loop Header: Depth=1
	v_mov_b32_e32 v2, 1
	s_and_saveexec_b64 s[6:7], s[0:1]
	s_cbranch_execz .LBB1_243
; %bb.247:                              ;   in Loop: Header=BB1_246 Depth=1
	global_load_dword v2, v[10:11], off offset:20 sc0 sc1
	s_waitcnt vmcnt(0)
	buffer_inv sc0 sc1
	v_and_b32_e32 v2, 1, v2
	s_branch .LBB1_243
.LBB1_248:
	global_load_dwordx2 v[6:7], v[0:1], off
	s_and_saveexec_b64 s[6:7], s[0:1]
	s_cbranch_execz .LBB1_251
; %bb.249:
	v_mov_b32_e32 v10, 0
	global_load_dwordx2 v[8:9], v10, s[2:3] offset:40
	global_load_dwordx2 v[12:13], v10, s[2:3] offset:24 sc0 sc1
	global_load_dwordx2 v[14:15], v10, s[2:3]
	s_mov_b64 s[0:1], 0
	s_waitcnt vmcnt(2)
	v_lshl_add_u64 v[0:1], v[8:9], 0, 1
	v_lshl_add_u64 v[16:17], v[0:1], 0, s[4:5]
	v_cmp_eq_u64_e32 vcc, 0, v[16:17]
	s_waitcnt vmcnt(1)
	v_mov_b32_e32 v2, v12
	v_cndmask_b32_e32 v1, v17, v1, vcc
	v_cndmask_b32_e32 v0, v16, v0, vcc
	v_and_b32_e32 v3, v1, v9
	v_and_b32_e32 v8, v0, v8
	v_mul_lo_u32 v3, v3, 24
	v_mul_hi_u32 v9, v8, 24
	v_mul_lo_u32 v8, v8, 24
	v_add_u32_e32 v9, v9, v3
	s_waitcnt vmcnt(0)
	v_lshl_add_u64 v[8:9], v[14:15], 0, v[8:9]
	global_store_dwordx2 v[8:9], v[12:13], off
	v_mov_b32_e32 v3, v13
	buffer_wbl2 sc0 sc1
	s_waitcnt vmcnt(0)
	global_atomic_cmpswap_x2 v[2:3], v10, v[0:3], s[2:3] offset:24 sc0 sc1
	s_waitcnt vmcnt(0)
	v_cmp_ne_u64_e32 vcc, v[2:3], v[12:13]
	s_and_b64 exec, exec, vcc
	s_cbranch_execz .LBB1_251
.LBB1_250:                              ; =>This Inner Loop Header: Depth=1
	s_sleep 1
	global_store_dwordx2 v[8:9], v[2:3], off
	buffer_wbl2 sc0 sc1
	s_waitcnt vmcnt(0)
	global_atomic_cmpswap_x2 v[12:13], v10, v[0:3], s[2:3] offset:24 sc0 sc1
	s_waitcnt vmcnt(0)
	v_cmp_eq_u64_e32 vcc, v[12:13], v[2:3]
	s_or_b64 s[0:1], vcc, s[0:1]
	v_mov_b64_e32 v[2:3], v[12:13]
	s_andn2_b64 exec, exec, s[0:1]
	s_cbranch_execnz .LBB1_250
.LBB1_251:
	s_or_b64 exec, exec, s[6:7]
.LBB1_252:
	v_readfirstlane_b32 s0, v38
	s_waitcnt vmcnt(0)
	v_mov_b64_e32 v[8:9], 0
	v_cmp_eq_u32_e64 s[0:1], s0, v38
	s_and_saveexec_b64 s[4:5], s[0:1]
	s_cbranch_execz .LBB1_258
; %bb.253:
	v_mov_b32_e32 v0, 0
	global_load_dwordx2 v[10:11], v0, s[2:3] offset:24 sc0 sc1
	s_waitcnt vmcnt(0)
	buffer_inv sc0 sc1
	global_load_dwordx2 v[2:3], v0, s[2:3] offset:40
	global_load_dwordx2 v[8:9], v0, s[2:3]
	s_waitcnt vmcnt(1)
	v_and_b32_e32 v1, v2, v10
	v_and_b32_e32 v2, v3, v11
	v_mul_lo_u32 v2, v2, 24
	v_mul_hi_u32 v3, v1, 24
	v_add_u32_e32 v3, v3, v2
	v_mul_lo_u32 v2, v1, 24
	s_waitcnt vmcnt(0)
	v_lshl_add_u64 v[2:3], v[8:9], 0, v[2:3]
	global_load_dwordx2 v[8:9], v[2:3], off sc0 sc1
	s_waitcnt vmcnt(0)
	global_atomic_cmpswap_x2 v[8:9], v0, v[8:11], s[2:3] offset:24 sc0 sc1
	s_waitcnt vmcnt(0)
	buffer_inv sc0 sc1
	v_cmp_ne_u64_e32 vcc, v[8:9], v[10:11]
	s_and_saveexec_b64 s[6:7], vcc
	s_cbranch_execz .LBB1_257
; %bb.254:
	s_mov_b64 s[10:11], 0
.LBB1_255:                              ; =>This Inner Loop Header: Depth=1
	s_sleep 1
	global_load_dwordx2 v[2:3], v0, s[2:3] offset:40
	global_load_dwordx2 v[12:13], v0, s[2:3]
	v_mov_b64_e32 v[10:11], v[8:9]
	s_waitcnt vmcnt(1)
	v_and_b32_e32 v2, v2, v10
	v_and_b32_e32 v1, v3, v11
	s_waitcnt vmcnt(0)
	v_mad_u64_u32 v[2:3], s[12:13], v2, 24, v[12:13]
	v_mov_b32_e32 v8, v3
	v_mad_u64_u32 v[8:9], s[12:13], v1, 24, v[8:9]
	v_mov_b32_e32 v3, v8
	global_load_dwordx2 v[8:9], v[2:3], off sc0 sc1
	s_waitcnt vmcnt(0)
	global_atomic_cmpswap_x2 v[8:9], v0, v[8:11], s[2:3] offset:24 sc0 sc1
	s_waitcnt vmcnt(0)
	buffer_inv sc0 sc1
	v_cmp_eq_u64_e32 vcc, v[8:9], v[10:11]
	s_or_b64 s[10:11], vcc, s[10:11]
	s_andn2_b64 exec, exec, s[10:11]
	s_cbranch_execnz .LBB1_255
; %bb.256:
	s_or_b64 exec, exec, s[10:11]
.LBB1_257:
	s_or_b64 exec, exec, s[6:7]
.LBB1_258:
	s_or_b64 exec, exec, s[4:5]
	v_mov_b32_e32 v33, 0
	global_load_dwordx2 v[10:11], v33, s[2:3] offset:40
	global_load_dwordx4 v[0:3], v33, s[2:3]
	v_readfirstlane_b32 s4, v8
	v_readfirstlane_b32 s5, v9
	s_mov_b64 s[6:7], exec
	s_waitcnt vmcnt(1)
	v_readfirstlane_b32 s10, v10
	v_readfirstlane_b32 s11, v11
	s_and_b64 s[10:11], s[4:5], s[10:11]
	s_mul_i32 s12, s11, 24
	s_mul_hi_u32 s13, s10, 24
	s_add_i32 s13, s13, s12
	s_mul_i32 s12, s10, 24
	s_waitcnt vmcnt(0)
	v_lshl_add_u64 v[10:11], v[0:1], 0, s[12:13]
	s_and_saveexec_b64 s[12:13], s[0:1]
	s_cbranch_execz .LBB1_260
; %bb.259:
	v_mov_b64_e32 v[12:13], s[6:7]
	v_mov_b32_e32 v14, 2
	v_mov_b32_e32 v15, 1
	global_store_dwordx4 v[10:11], v[12:15], off offset:8
.LBB1_260:
	s_or_b64 exec, exec, s[12:13]
	s_lshl_b64 s[6:7], s[10:11], 12
	v_lshl_add_u64 v[12:13], v[2:3], 0, s[6:7]
	s_movk_i32 s6, 0xff1f
	s_mov_b32 s12, 0
	v_and_or_b32 v6, v6, s6, 32
	v_mov_b32_e32 v8, 0x331
	v_mov_b32_e32 v9, v33
	v_readfirstlane_b32 s6, v12
	v_readfirstlane_b32 s7, v13
	s_mov_b32 s13, s12
	s_mov_b32 s14, s12
	;; [unrolled: 1-line block ×3, first 2 shown]
	s_nop 1
	global_store_dwordx4 v32, v[6:9], s[6:7]
	s_nop 1
	v_mov_b64_e32 v[6:7], s[12:13]
	v_mov_b64_e32 v[8:9], s[14:15]
	global_store_dwordx4 v32, v[6:9], s[6:7] offset:16
	global_store_dwordx4 v32, v[6:9], s[6:7] offset:32
	;; [unrolled: 1-line block ×3, first 2 shown]
	s_and_saveexec_b64 s[6:7], s[0:1]
	s_cbranch_execz .LBB1_268
; %bb.261:
	v_mov_b32_e32 v8, 0
	global_load_dwordx2 v[16:17], v8, s[2:3] offset:32 sc0 sc1
	global_load_dwordx2 v[2:3], v8, s[2:3] offset:40
	v_mov_b32_e32 v14, s4
	v_mov_b32_e32 v15, s5
	s_waitcnt vmcnt(0)
	v_readfirstlane_b32 s10, v2
	v_readfirstlane_b32 s11, v3
	s_and_b64 s[10:11], s[10:11], s[4:5]
	s_mul_i32 s11, s11, 24
	s_mul_hi_u32 s12, s10, 24
	s_mul_i32 s10, s10, 24
	s_add_i32 s11, s12, s11
	v_lshl_add_u64 v[6:7], v[0:1], 0, s[10:11]
	global_store_dwordx2 v[6:7], v[16:17], off
	buffer_wbl2 sc0 sc1
	s_waitcnt vmcnt(0)
	global_atomic_cmpswap_x2 v[2:3], v8, v[14:17], s[2:3] offset:32 sc0 sc1
	s_waitcnt vmcnt(0)
	v_cmp_ne_u64_e32 vcc, v[2:3], v[16:17]
	s_and_saveexec_b64 s[10:11], vcc
	s_cbranch_execz .LBB1_264
; %bb.262:
	s_mov_b64 s[12:13], 0
.LBB1_263:                              ; =>This Inner Loop Header: Depth=1
	s_sleep 1
	global_store_dwordx2 v[6:7], v[2:3], off
	v_mov_b32_e32 v0, s4
	v_mov_b32_e32 v1, s5
	buffer_wbl2 sc0 sc1
	s_waitcnt vmcnt(0)
	global_atomic_cmpswap_x2 v[0:1], v8, v[0:3], s[2:3] offset:32 sc0 sc1
	s_waitcnt vmcnt(0)
	v_cmp_eq_u64_e32 vcc, v[0:1], v[2:3]
	s_or_b64 s[12:13], vcc, s[12:13]
	v_mov_b64_e32 v[2:3], v[0:1]
	s_andn2_b64 exec, exec, s[12:13]
	s_cbranch_execnz .LBB1_263
.LBB1_264:
	s_or_b64 exec, exec, s[10:11]
	v_mov_b32_e32 v3, 0
	global_load_dwordx2 v[0:1], v3, s[2:3] offset:16
	s_mov_b64 s[10:11], exec
	v_mbcnt_lo_u32_b32 v2, s10, 0
	v_mbcnt_hi_u32_b32 v2, s11, v2
	v_cmp_eq_u32_e32 vcc, 0, v2
	s_and_saveexec_b64 s[12:13], vcc
	s_cbranch_execz .LBB1_266
; %bb.265:
	s_bcnt1_i32_b64 s10, s[10:11]
	v_mov_b32_e32 v2, s10
	buffer_wbl2 sc0 sc1
	s_waitcnt vmcnt(0)
	global_atomic_add_x2 v[0:1], v[2:3], off offset:8 sc1
.LBB1_266:
	s_or_b64 exec, exec, s[12:13]
	s_waitcnt vmcnt(0)
	global_load_dwordx2 v[2:3], v[0:1], off offset:16
	s_waitcnt vmcnt(0)
	v_cmp_eq_u64_e32 vcc, 0, v[2:3]
	s_cbranch_vccnz .LBB1_268
; %bb.267:
	global_load_dword v0, v[0:1], off offset:24
	v_mov_b32_e32 v1, 0
	buffer_wbl2 sc0 sc1
	s_waitcnt vmcnt(0)
	global_store_dwordx2 v[2:3], v[0:1], off sc0 sc1
	v_and_b32_e32 v0, 0xffffff, v0
	s_nop 0
	v_readfirstlane_b32 m0, v0
	s_sendmsg sendmsg(MSG_INTERRUPT)
.LBB1_268:
	s_or_b64 exec, exec, s[6:7]
	v_lshl_add_u64 v[0:1], v[12:13], 0, v[32:33]
	s_branch .LBB1_272
.LBB1_269:                              ;   in Loop: Header=BB1_272 Depth=1
	s_or_b64 exec, exec, s[6:7]
	v_readfirstlane_b32 s6, v2
	s_cmp_eq_u32 s6, 0
	s_cbranch_scc1 .LBB1_271
; %bb.270:                              ;   in Loop: Header=BB1_272 Depth=1
	s_sleep 1
	s_cbranch_execnz .LBB1_272
	s_branch .LBB1_274
.LBB1_271:
	s_branch .LBB1_274
.LBB1_272:                              ; =>This Inner Loop Header: Depth=1
	v_mov_b32_e32 v2, 1
	s_and_saveexec_b64 s[6:7], s[0:1]
	s_cbranch_execz .LBB1_269
; %bb.273:                              ;   in Loop: Header=BB1_272 Depth=1
	global_load_dword v2, v[10:11], off offset:20 sc0 sc1
	s_waitcnt vmcnt(0)
	buffer_inv sc0 sc1
	v_and_b32_e32 v2, 1, v2
	s_branch .LBB1_269
.LBB1_274:
	global_load_dwordx2 v[0:1], v[0:1], off
	s_and_saveexec_b64 s[6:7], s[0:1]
	s_cbranch_execz .LBB1_277
; %bb.275:
	v_mov_b32_e32 v10, 0
	global_load_dwordx2 v[2:3], v10, s[2:3] offset:40
	global_load_dwordx2 v[12:13], v10, s[2:3] offset:24 sc0 sc1
	global_load_dwordx2 v[14:15], v10, s[2:3]
	s_mov_b64 s[0:1], 0
	s_waitcnt vmcnt(2)
	v_lshl_add_u64 v[6:7], v[2:3], 0, 1
	v_lshl_add_u64 v[16:17], v[6:7], 0, s[4:5]
	v_cmp_eq_u64_e32 vcc, 0, v[16:17]
	s_waitcnt vmcnt(1)
	v_mov_b32_e32 v8, v12
	v_cndmask_b32_e32 v7, v17, v7, vcc
	v_cndmask_b32_e32 v6, v16, v6, vcc
	v_and_b32_e32 v3, v7, v3
	v_and_b32_e32 v2, v6, v2
	v_mul_lo_u32 v3, v3, 24
	v_mul_hi_u32 v9, v2, 24
	v_mul_lo_u32 v2, v2, 24
	v_add_u32_e32 v3, v9, v3
	s_waitcnt vmcnt(0)
	v_lshl_add_u64 v[2:3], v[14:15], 0, v[2:3]
	global_store_dwordx2 v[2:3], v[12:13], off
	v_mov_b32_e32 v9, v13
	buffer_wbl2 sc0 sc1
	s_waitcnt vmcnt(0)
	global_atomic_cmpswap_x2 v[8:9], v10, v[6:9], s[2:3] offset:24 sc0 sc1
	s_waitcnt vmcnt(0)
	v_cmp_ne_u64_e32 vcc, v[8:9], v[12:13]
	s_and_b64 exec, exec, vcc
	s_cbranch_execz .LBB1_277
.LBB1_276:                              ; =>This Inner Loop Header: Depth=1
	s_sleep 1
	global_store_dwordx2 v[2:3], v[8:9], off
	buffer_wbl2 sc0 sc1
	s_waitcnt vmcnt(0)
	global_atomic_cmpswap_x2 v[12:13], v10, v[6:9], s[2:3] offset:24 sc0 sc1
	s_waitcnt vmcnt(0)
	v_cmp_eq_u64_e32 vcc, v[12:13], v[8:9]
	s_or_b64 s[0:1], vcc, s[0:1]
	v_mov_b64_e32 v[8:9], v[12:13]
	s_andn2_b64 exec, exec, s[0:1]
	s_cbranch_execnz .LBB1_276
.LBB1_277:
	s_or_b64 exec, exec, s[6:7]
	s_mov_b64 s[0:1], 0
	v_mov_b64_e32 v[2:3], v[4:5]
.LBB1_278:                              ; =>This Inner Loop Header: Depth=1
	flat_load_ubyte v6, v[2:3]
	v_lshl_add_u64 v[2:3], v[2:3], 0, 1
	s_waitcnt vmcnt(0) lgkmcnt(0)
	v_cmp_eq_u16_e32 vcc, 0, v6
	s_or_b64 s[0:1], vcc, s[0:1]
	s_andn2_b64 exec, exec, s[0:1]
	s_cbranch_execnz .LBB1_278
; %bb.279:
	s_or_b64 exec, exec, s[0:1]
	s_mov_b64 s[4:5], 0
	v_cmp_ne_u64_e32 vcc, 0, v[4:5]
	s_and_saveexec_b64 s[0:1], vcc
	s_xor_b64 s[6:7], exec, s[0:1]
	s_cbranch_execz .LBB1_365
; %bb.280:
	v_sub_u32_e32 v26, v2, v4
	v_ashrrev_i32_e32 v27, 31, v26
	v_and_b32_e32 v28, 2, v0
	v_mov_b32_e32 v33, 0
	v_and_b32_e32 v0, -3, v0
	s_mov_b32 s18, 0
	s_movk_i32 s19, 0xff1f
	v_mov_b32_e32 v8, 2
	v_mov_b32_e32 v9, 1
	s_branch .LBB1_282
.LBB1_281:                              ;   in Loop: Header=BB1_282 Depth=1
	s_or_b64 exec, exec, s[12:13]
	v_sub_co_u32_e32 v26, vcc, v26, v30
	v_lshl_add_u64 v[4:5], v[4:5], 0, v[30:31]
	s_nop 0
	v_subb_co_u32_e32 v27, vcc, v27, v31, vcc
	v_cmp_eq_u64_e32 vcc, 0, v[26:27]
	s_or_b64 s[4:5], vcc, s[4:5]
	s_andn2_b64 exec, exec, s[4:5]
	s_cbranch_execz .LBB1_364
.LBB1_282:                              ; =>This Loop Header: Depth=1
                                        ;     Child Loop BB1_285 Depth 2
                                        ;     Child Loop BB1_293 Depth 2
	;; [unrolled: 1-line block ×11, first 2 shown]
	v_cmp_gt_u64_e32 vcc, 56, v[26:27]
                                        ; implicit-def: $vgpr2_vgpr3
                                        ; implicit-def: $sgpr10
	s_nop 1
	v_cndmask_b32_e32 v31, 0, v27, vcc
	v_cndmask_b32_e32 v30, 56, v26, vcc
	v_cmp_gt_u64_e32 vcc, 8, v[26:27]
	s_and_saveexec_b64 s[0:1], vcc
	s_xor_b64 s[0:1], exec, s[0:1]
	s_cbranch_execz .LBB1_288
; %bb.283:                              ;   in Loop: Header=BB1_282 Depth=1
	s_mov_b64 s[12:13], 0
	v_cmp_ne_u64_e32 vcc, 0, v[26:27]
	s_waitcnt vmcnt(0)
	v_mov_b64_e32 v[2:3], 0
	s_and_saveexec_b64 s[10:11], vcc
	s_cbranch_execz .LBB1_287
; %bb.284:                              ;   in Loop: Header=BB1_282 Depth=1
	v_lshlrev_b64 v[6:7], 3, v[30:31]
	v_mov_b64_e32 v[2:3], 0
	v_mov_b64_e32 v[10:11], v[4:5]
	s_mov_b64 s[14:15], 0
.LBB1_285:                              ;   Parent Loop BB1_282 Depth=1
                                        ; =>  This Inner Loop Header: Depth=2
	flat_load_ubyte v7, v[10:11]
	v_mov_b32_e32 v13, s18
	v_lshl_add_u64 v[10:11], v[10:11], 0, 1
	s_waitcnt vmcnt(0) lgkmcnt(0)
	v_and_b32_e32 v12, 0xffff, v7
	v_lshlrev_b64 v[12:13], s14, v[12:13]
	s_add_u32 s14, s14, 8
	s_addc_u32 s15, s15, 0
	v_cmp_eq_u32_e32 vcc, s14, v6
	v_or_b32_e32 v3, v13, v3
	s_or_b64 s[12:13], vcc, s[12:13]
	v_or_b32_e32 v2, v12, v2
	s_andn2_b64 exec, exec, s[12:13]
	s_cbranch_execnz .LBB1_285
; %bb.286:                              ;   in Loop: Header=BB1_282 Depth=1
	s_or_b64 exec, exec, s[12:13]
.LBB1_287:                              ;   in Loop: Header=BB1_282 Depth=1
	s_or_b64 exec, exec, s[10:11]
	s_mov_b32 s10, 0
.LBB1_288:                              ;   in Loop: Header=BB1_282 Depth=1
	s_or_saveexec_b64 s[0:1], s[0:1]
	v_mov_b32_e32 v12, s10
	v_mov_b64_e32 v[6:7], v[4:5]
	s_xor_b64 exec, exec, s[0:1]
	s_cbranch_execz .LBB1_290
; %bb.289:                              ;   in Loop: Header=BB1_282 Depth=1
	s_waitcnt vmcnt(0)
	flat_load_dwordx2 v[2:3], v[4:5]
	v_add_u32_e32 v12, -8, v30
	s_waitcnt vmcnt(0) lgkmcnt(0)
	v_and_b32_e32 v6, 0xff, v3
	v_and_b32_e32 v7, 0xff00, v3
	;; [unrolled: 1-line block ×4, first 2 shown]
	v_or_b32_e32 v6, v6, v7
	v_or3_b32 v2, v2, 0, 0
	v_or3_b32 v3, v6, v10, v3
	v_lshl_add_u64 v[6:7], v[4:5], 0, 8
.LBB1_290:                              ;   in Loop: Header=BB1_282 Depth=1
	s_or_b64 exec, exec, s[0:1]
	v_cmp_gt_u32_e32 vcc, 8, v12
                                        ; implicit-def: $vgpr10_vgpr11
                                        ; implicit-def: $sgpr10
	s_and_saveexec_b64 s[0:1], vcc
	s_xor_b64 s[0:1], exec, s[0:1]
	s_cbranch_execz .LBB1_296
; %bb.291:                              ;   in Loop: Header=BB1_282 Depth=1
	v_cmp_ne_u32_e32 vcc, 0, v12
	v_mov_b64_e32 v[10:11], 0
	s_and_saveexec_b64 s[10:11], vcc
	s_cbranch_execz .LBB1_295
; %bb.292:                              ;   in Loop: Header=BB1_282 Depth=1
	s_mov_b64 s[12:13], 0
	v_mov_b64_e32 v[10:11], 0
	s_mov_b64 s[14:15], 0
	s_mov_b64 s[16:17], 0
.LBB1_293:                              ;   Parent Loop BB1_282 Depth=1
                                        ; =>  This Inner Loop Header: Depth=2
	v_lshl_add_u64 v[14:15], v[6:7], 0, s[16:17]
	flat_load_ubyte v13, v[14:15]
	s_add_u32 s16, s16, 1
	v_mov_b32_e32 v15, s18
	s_addc_u32 s17, s17, 0
	v_cmp_eq_u32_e32 vcc, s16, v12
	s_waitcnt vmcnt(0) lgkmcnt(0)
	v_and_b32_e32 v14, 0xffff, v13
	v_lshlrev_b64 v[14:15], s14, v[14:15]
	s_add_u32 s14, s14, 8
	s_addc_u32 s15, s15, 0
	v_or_b32_e32 v11, v15, v11
	s_or_b64 s[12:13], vcc, s[12:13]
	v_or_b32_e32 v10, v14, v10
	s_andn2_b64 exec, exec, s[12:13]
	s_cbranch_execnz .LBB1_293
; %bb.294:                              ;   in Loop: Header=BB1_282 Depth=1
	s_or_b64 exec, exec, s[12:13]
.LBB1_295:                              ;   in Loop: Header=BB1_282 Depth=1
	s_or_b64 exec, exec, s[10:11]
	s_mov_b32 s10, 0
                                        ; implicit-def: $vgpr12
.LBB1_296:                              ;   in Loop: Header=BB1_282 Depth=1
	s_or_saveexec_b64 s[0:1], s[0:1]
	v_mov_b32_e32 v14, s10
	s_xor_b64 exec, exec, s[0:1]
	s_cbranch_execz .LBB1_298
; %bb.297:                              ;   in Loop: Header=BB1_282 Depth=1
	flat_load_dwordx2 v[10:11], v[6:7]
	v_add_u32_e32 v14, -8, v12
	v_lshl_add_u64 v[6:7], v[6:7], 0, 8
	s_waitcnt vmcnt(0) lgkmcnt(0)
	v_and_b32_e32 v12, 0xff, v11
	v_and_b32_e32 v13, 0xff00, v11
	;; [unrolled: 1-line block ×4, first 2 shown]
	v_or_b32_e32 v12, v12, v13
	v_or3_b32 v10, v10, 0, 0
	v_or3_b32 v11, v12, v15, v11
.LBB1_298:                              ;   in Loop: Header=BB1_282 Depth=1
	s_or_b64 exec, exec, s[0:1]
	v_cmp_gt_u32_e32 vcc, 8, v14
                                        ; implicit-def: $sgpr10
	s_and_saveexec_b64 s[0:1], vcc
	s_xor_b64 s[0:1], exec, s[0:1]
	s_cbranch_execz .LBB1_304
; %bb.299:                              ;   in Loop: Header=BB1_282 Depth=1
	v_cmp_ne_u32_e32 vcc, 0, v14
	v_mov_b64_e32 v[12:13], 0
	s_and_saveexec_b64 s[10:11], vcc
	s_cbranch_execz .LBB1_303
; %bb.300:                              ;   in Loop: Header=BB1_282 Depth=1
	s_mov_b64 s[12:13], 0
	v_mov_b64_e32 v[12:13], 0
	s_mov_b64 s[14:15], 0
	s_mov_b64 s[16:17], 0
.LBB1_301:                              ;   Parent Loop BB1_282 Depth=1
                                        ; =>  This Inner Loop Header: Depth=2
	v_lshl_add_u64 v[16:17], v[6:7], 0, s[16:17]
	flat_load_ubyte v15, v[16:17]
	s_add_u32 s16, s16, 1
	v_mov_b32_e32 v17, s18
	s_addc_u32 s17, s17, 0
	v_cmp_eq_u32_e32 vcc, s16, v14
	s_waitcnt vmcnt(0) lgkmcnt(0)
	v_and_b32_e32 v16, 0xffff, v15
	v_lshlrev_b64 v[16:17], s14, v[16:17]
	s_add_u32 s14, s14, 8
	s_addc_u32 s15, s15, 0
	v_or_b32_e32 v13, v17, v13
	s_or_b64 s[12:13], vcc, s[12:13]
	v_or_b32_e32 v12, v16, v12
	s_andn2_b64 exec, exec, s[12:13]
	s_cbranch_execnz .LBB1_301
; %bb.302:                              ;   in Loop: Header=BB1_282 Depth=1
	s_or_b64 exec, exec, s[12:13]
.LBB1_303:                              ;   in Loop: Header=BB1_282 Depth=1
	s_or_b64 exec, exec, s[10:11]
	s_mov_b32 s10, 0
                                        ; implicit-def: $vgpr14
.LBB1_304:                              ;   in Loop: Header=BB1_282 Depth=1
	s_or_saveexec_b64 s[0:1], s[0:1]
	v_mov_b32_e32 v16, s10
	s_xor_b64 exec, exec, s[0:1]
	s_cbranch_execz .LBB1_306
; %bb.305:                              ;   in Loop: Header=BB1_282 Depth=1
	flat_load_dwordx2 v[12:13], v[6:7]
	v_add_u32_e32 v16, -8, v14
	v_lshl_add_u64 v[6:7], v[6:7], 0, 8
	s_waitcnt vmcnt(0) lgkmcnt(0)
	v_and_b32_e32 v14, 0xff, v13
	v_and_b32_e32 v15, 0xff00, v13
	;; [unrolled: 1-line block ×4, first 2 shown]
	v_or_b32_e32 v14, v14, v15
	v_or3_b32 v12, v12, 0, 0
	v_or3_b32 v13, v14, v17, v13
.LBB1_306:                              ;   in Loop: Header=BB1_282 Depth=1
	s_or_b64 exec, exec, s[0:1]
	v_cmp_gt_u32_e32 vcc, 8, v16
                                        ; implicit-def: $vgpr14_vgpr15
                                        ; implicit-def: $sgpr10
	s_and_saveexec_b64 s[0:1], vcc
	s_xor_b64 s[0:1], exec, s[0:1]
	s_cbranch_execz .LBB1_312
; %bb.307:                              ;   in Loop: Header=BB1_282 Depth=1
	v_cmp_ne_u32_e32 vcc, 0, v16
	v_mov_b64_e32 v[14:15], 0
	s_and_saveexec_b64 s[10:11], vcc
	s_cbranch_execz .LBB1_311
; %bb.308:                              ;   in Loop: Header=BB1_282 Depth=1
	s_mov_b64 s[12:13], 0
	v_mov_b64_e32 v[14:15], 0
	s_mov_b64 s[14:15], 0
	s_mov_b64 s[16:17], 0
.LBB1_309:                              ;   Parent Loop BB1_282 Depth=1
                                        ; =>  This Inner Loop Header: Depth=2
	v_lshl_add_u64 v[18:19], v[6:7], 0, s[16:17]
	flat_load_ubyte v17, v[18:19]
	s_add_u32 s16, s16, 1
	v_mov_b32_e32 v19, s18
	s_addc_u32 s17, s17, 0
	v_cmp_eq_u32_e32 vcc, s16, v16
	s_waitcnt vmcnt(0) lgkmcnt(0)
	v_and_b32_e32 v18, 0xffff, v17
	v_lshlrev_b64 v[18:19], s14, v[18:19]
	s_add_u32 s14, s14, 8
	s_addc_u32 s15, s15, 0
	v_or_b32_e32 v15, v19, v15
	s_or_b64 s[12:13], vcc, s[12:13]
	v_or_b32_e32 v14, v18, v14
	s_andn2_b64 exec, exec, s[12:13]
	s_cbranch_execnz .LBB1_309
; %bb.310:                              ;   in Loop: Header=BB1_282 Depth=1
	s_or_b64 exec, exec, s[12:13]
.LBB1_311:                              ;   in Loop: Header=BB1_282 Depth=1
	s_or_b64 exec, exec, s[10:11]
	s_mov_b32 s10, 0
                                        ; implicit-def: $vgpr16
.LBB1_312:                              ;   in Loop: Header=BB1_282 Depth=1
	s_or_saveexec_b64 s[0:1], s[0:1]
	v_mov_b32_e32 v18, s10
	s_xor_b64 exec, exec, s[0:1]
	s_cbranch_execz .LBB1_314
; %bb.313:                              ;   in Loop: Header=BB1_282 Depth=1
	flat_load_dwordx2 v[14:15], v[6:7]
	v_add_u32_e32 v18, -8, v16
	v_lshl_add_u64 v[6:7], v[6:7], 0, 8
	s_waitcnt vmcnt(0) lgkmcnt(0)
	v_and_b32_e32 v16, 0xff, v15
	v_and_b32_e32 v17, 0xff00, v15
	;; [unrolled: 1-line block ×4, first 2 shown]
	v_or_b32_e32 v16, v16, v17
	v_or3_b32 v14, v14, 0, 0
	v_or3_b32 v15, v16, v19, v15
.LBB1_314:                              ;   in Loop: Header=BB1_282 Depth=1
	s_or_b64 exec, exec, s[0:1]
	v_cmp_gt_u32_e32 vcc, 8, v18
                                        ; implicit-def: $sgpr10
	s_and_saveexec_b64 s[0:1], vcc
	s_xor_b64 s[0:1], exec, s[0:1]
	s_cbranch_execz .LBB1_320
; %bb.315:                              ;   in Loop: Header=BB1_282 Depth=1
	v_cmp_ne_u32_e32 vcc, 0, v18
	v_mov_b64_e32 v[16:17], 0
	s_and_saveexec_b64 s[10:11], vcc
	s_cbranch_execz .LBB1_319
; %bb.316:                              ;   in Loop: Header=BB1_282 Depth=1
	s_mov_b64 s[12:13], 0
	v_mov_b64_e32 v[16:17], 0
	s_mov_b64 s[14:15], 0
	s_mov_b64 s[16:17], 0
.LBB1_317:                              ;   Parent Loop BB1_282 Depth=1
                                        ; =>  This Inner Loop Header: Depth=2
	v_lshl_add_u64 v[20:21], v[6:7], 0, s[16:17]
	flat_load_ubyte v19, v[20:21]
	s_add_u32 s16, s16, 1
	v_mov_b32_e32 v21, s18
	s_addc_u32 s17, s17, 0
	v_cmp_eq_u32_e32 vcc, s16, v18
	s_waitcnt vmcnt(0) lgkmcnt(0)
	v_and_b32_e32 v20, 0xffff, v19
	v_lshlrev_b64 v[20:21], s14, v[20:21]
	s_add_u32 s14, s14, 8
	s_addc_u32 s15, s15, 0
	v_or_b32_e32 v17, v21, v17
	s_or_b64 s[12:13], vcc, s[12:13]
	v_or_b32_e32 v16, v20, v16
	s_andn2_b64 exec, exec, s[12:13]
	s_cbranch_execnz .LBB1_317
; %bb.318:                              ;   in Loop: Header=BB1_282 Depth=1
	s_or_b64 exec, exec, s[12:13]
.LBB1_319:                              ;   in Loop: Header=BB1_282 Depth=1
	s_or_b64 exec, exec, s[10:11]
	s_mov_b32 s10, 0
                                        ; implicit-def: $vgpr18
.LBB1_320:                              ;   in Loop: Header=BB1_282 Depth=1
	s_or_saveexec_b64 s[0:1], s[0:1]
	v_mov_b32_e32 v20, s10
	s_xor_b64 exec, exec, s[0:1]
	s_cbranch_execz .LBB1_322
; %bb.321:                              ;   in Loop: Header=BB1_282 Depth=1
	flat_load_dwordx2 v[16:17], v[6:7]
	v_add_u32_e32 v20, -8, v18
	v_lshl_add_u64 v[6:7], v[6:7], 0, 8
	s_waitcnt vmcnt(0) lgkmcnt(0)
	v_and_b32_e32 v18, 0xff, v17
	v_and_b32_e32 v19, 0xff00, v17
	;; [unrolled: 1-line block ×4, first 2 shown]
	v_or_b32_e32 v18, v18, v19
	v_or3_b32 v16, v16, 0, 0
	v_or3_b32 v17, v18, v21, v17
.LBB1_322:                              ;   in Loop: Header=BB1_282 Depth=1
	s_or_b64 exec, exec, s[0:1]
	v_cmp_gt_u32_e32 vcc, 8, v20
                                        ; implicit-def: $vgpr18_vgpr19
                                        ; implicit-def: $sgpr10
	s_and_saveexec_b64 s[0:1], vcc
	s_xor_b64 s[0:1], exec, s[0:1]
	s_cbranch_execz .LBB1_328
; %bb.323:                              ;   in Loop: Header=BB1_282 Depth=1
	v_cmp_ne_u32_e32 vcc, 0, v20
	v_mov_b64_e32 v[18:19], 0
	s_and_saveexec_b64 s[10:11], vcc
	s_cbranch_execz .LBB1_327
; %bb.324:                              ;   in Loop: Header=BB1_282 Depth=1
	s_mov_b64 s[12:13], 0
	v_mov_b64_e32 v[18:19], 0
	s_mov_b64 s[14:15], 0
	s_mov_b64 s[16:17], 0
.LBB1_325:                              ;   Parent Loop BB1_282 Depth=1
                                        ; =>  This Inner Loop Header: Depth=2
	v_lshl_add_u64 v[22:23], v[6:7], 0, s[16:17]
	flat_load_ubyte v21, v[22:23]
	s_add_u32 s16, s16, 1
	v_mov_b32_e32 v23, s18
	s_addc_u32 s17, s17, 0
	v_cmp_eq_u32_e32 vcc, s16, v20
	s_waitcnt vmcnt(0) lgkmcnt(0)
	v_and_b32_e32 v22, 0xffff, v21
	v_lshlrev_b64 v[22:23], s14, v[22:23]
	s_add_u32 s14, s14, 8
	s_addc_u32 s15, s15, 0
	v_or_b32_e32 v19, v23, v19
	s_or_b64 s[12:13], vcc, s[12:13]
	v_or_b32_e32 v18, v22, v18
	s_andn2_b64 exec, exec, s[12:13]
	s_cbranch_execnz .LBB1_325
; %bb.326:                              ;   in Loop: Header=BB1_282 Depth=1
	s_or_b64 exec, exec, s[12:13]
.LBB1_327:                              ;   in Loop: Header=BB1_282 Depth=1
	s_or_b64 exec, exec, s[10:11]
	s_mov_b32 s10, 0
                                        ; implicit-def: $vgpr20
.LBB1_328:                              ;   in Loop: Header=BB1_282 Depth=1
	s_or_saveexec_b64 s[0:1], s[0:1]
	v_mov_b32_e32 v22, s10
	s_xor_b64 exec, exec, s[0:1]
	s_cbranch_execz .LBB1_330
; %bb.329:                              ;   in Loop: Header=BB1_282 Depth=1
	flat_load_dwordx2 v[18:19], v[6:7]
	v_add_u32_e32 v22, -8, v20
	v_lshl_add_u64 v[6:7], v[6:7], 0, 8
	s_waitcnt vmcnt(0) lgkmcnt(0)
	v_and_b32_e32 v20, 0xff, v19
	v_and_b32_e32 v21, 0xff00, v19
	;; [unrolled: 1-line block ×4, first 2 shown]
	v_or_b32_e32 v20, v20, v21
	v_or3_b32 v18, v18, 0, 0
	v_or3_b32 v19, v20, v23, v19
.LBB1_330:                              ;   in Loop: Header=BB1_282 Depth=1
	s_or_b64 exec, exec, s[0:1]
	v_cmp_gt_u32_e32 vcc, 8, v22
	s_and_saveexec_b64 s[0:1], vcc
	s_xor_b64 s[0:1], exec, s[0:1]
	s_cbranch_execz .LBB1_336
; %bb.331:                              ;   in Loop: Header=BB1_282 Depth=1
	v_cmp_ne_u32_e32 vcc, 0, v22
	v_mov_b64_e32 v[20:21], 0
	s_and_saveexec_b64 s[10:11], vcc
	s_cbranch_execz .LBB1_335
; %bb.332:                              ;   in Loop: Header=BB1_282 Depth=1
	s_mov_b64 s[12:13], 0
	v_mov_b64_e32 v[20:21], 0
	s_mov_b64 s[14:15], 0
.LBB1_333:                              ;   Parent Loop BB1_282 Depth=1
                                        ; =>  This Inner Loop Header: Depth=2
	flat_load_ubyte v23, v[6:7]
	v_mov_b32_e32 v25, s18
	v_add_u32_e32 v22, -1, v22
	v_cmp_eq_u32_e32 vcc, 0, v22
	v_lshl_add_u64 v[6:7], v[6:7], 0, 1
	s_waitcnt vmcnt(0) lgkmcnt(0)
	v_and_b32_e32 v24, 0xffff, v23
	v_lshlrev_b64 v[24:25], s14, v[24:25]
	s_add_u32 s14, s14, 8
	s_addc_u32 s15, s15, 0
	v_or_b32_e32 v21, v25, v21
	s_or_b64 s[12:13], vcc, s[12:13]
	v_or_b32_e32 v20, v24, v20
	s_andn2_b64 exec, exec, s[12:13]
	s_cbranch_execnz .LBB1_333
; %bb.334:                              ;   in Loop: Header=BB1_282 Depth=1
	s_or_b64 exec, exec, s[12:13]
.LBB1_335:                              ;   in Loop: Header=BB1_282 Depth=1
	s_or_b64 exec, exec, s[10:11]
                                        ; implicit-def: $vgpr6_vgpr7
.LBB1_336:                              ;   in Loop: Header=BB1_282 Depth=1
	s_andn2_saveexec_b64 s[0:1], s[0:1]
	s_cbranch_execz .LBB1_338
; %bb.337:                              ;   in Loop: Header=BB1_282 Depth=1
	flat_load_dwordx2 v[6:7], v[6:7]
	s_waitcnt vmcnt(0) lgkmcnt(0)
	v_and_b32_e32 v20, 0xff, v7
	v_and_b32_e32 v21, 0xff00, v7
	v_and_b32_e32 v22, 0xff0000, v7
	v_and_b32_e32 v7, 0xff000000, v7
	v_or_b32_e32 v20, v20, v21
	v_or3_b32 v21, v20, v22, v7
	v_or3_b32 v20, v6, 0, 0
.LBB1_338:                              ;   in Loop: Header=BB1_282 Depth=1
	s_or_b64 exec, exec, s[0:1]
	v_readfirstlane_b32 s0, v38
	v_mov_b64_e32 v[6:7], 0
	s_nop 0
	v_cmp_eq_u32_e64 s[0:1], s0, v38
	s_and_saveexec_b64 s[10:11], s[0:1]
	s_cbranch_execz .LBB1_344
; %bb.339:                              ;   in Loop: Header=BB1_282 Depth=1
	global_load_dwordx2 v[24:25], v33, s[2:3] offset:24 sc0 sc1
	s_waitcnt vmcnt(0)
	buffer_inv sc0 sc1
	global_load_dwordx2 v[6:7], v33, s[2:3] offset:40
	global_load_dwordx2 v[22:23], v33, s[2:3]
	s_waitcnt vmcnt(1)
	v_and_b32_e32 v6, v6, v24
	v_and_b32_e32 v7, v7, v25
	v_mul_lo_u32 v7, v7, 24
	v_mul_hi_u32 v29, v6, 24
	v_add_u32_e32 v7, v29, v7
	v_mul_lo_u32 v6, v6, 24
	s_waitcnt vmcnt(0)
	v_lshl_add_u64 v[6:7], v[22:23], 0, v[6:7]
	global_load_dwordx2 v[22:23], v[6:7], off sc0 sc1
	s_waitcnt vmcnt(0)
	global_atomic_cmpswap_x2 v[6:7], v33, v[22:25], s[2:3] offset:24 sc0 sc1
	s_waitcnt vmcnt(0)
	buffer_inv sc0 sc1
	v_cmp_ne_u64_e32 vcc, v[6:7], v[24:25]
	s_and_saveexec_b64 s[12:13], vcc
	s_cbranch_execz .LBB1_343
; %bb.340:                              ;   in Loop: Header=BB1_282 Depth=1
	s_mov_b64 s[14:15], 0
.LBB1_341:                              ;   Parent Loop BB1_282 Depth=1
                                        ; =>  This Inner Loop Header: Depth=2
	s_sleep 1
	global_load_dwordx2 v[22:23], v33, s[2:3] offset:40
	global_load_dwordx2 v[34:35], v33, s[2:3]
	v_mov_b64_e32 v[24:25], v[6:7]
	s_waitcnt vmcnt(1)
	v_and_b32_e32 v6, v22, v24
	s_waitcnt vmcnt(0)
	v_mad_u64_u32 v[6:7], s[16:17], v6, 24, v[34:35]
	v_and_b32_e32 v23, v23, v25
	v_mov_b32_e32 v22, v7
	v_mad_u64_u32 v[22:23], s[16:17], v23, 24, v[22:23]
	v_mov_b32_e32 v7, v22
	global_load_dwordx2 v[22:23], v[6:7], off sc0 sc1
	s_waitcnt vmcnt(0)
	global_atomic_cmpswap_x2 v[6:7], v33, v[22:25], s[2:3] offset:24 sc0 sc1
	s_waitcnt vmcnt(0)
	buffer_inv sc0 sc1
	v_cmp_eq_u64_e32 vcc, v[6:7], v[24:25]
	s_or_b64 s[14:15], vcc, s[14:15]
	s_andn2_b64 exec, exec, s[14:15]
	s_cbranch_execnz .LBB1_341
; %bb.342:                              ;   in Loop: Header=BB1_282 Depth=1
	s_or_b64 exec, exec, s[14:15]
.LBB1_343:                              ;   in Loop: Header=BB1_282 Depth=1
	s_or_b64 exec, exec, s[12:13]
.LBB1_344:                              ;   in Loop: Header=BB1_282 Depth=1
	s_or_b64 exec, exec, s[10:11]
	global_load_dwordx2 v[34:35], v33, s[2:3] offset:40
	global_load_dwordx4 v[22:25], v33, s[2:3]
	v_readfirstlane_b32 s10, v6
	v_readfirstlane_b32 s11, v7
	s_mov_b64 s[12:13], exec
	s_waitcnt vmcnt(1)
	v_readfirstlane_b32 s14, v34
	v_readfirstlane_b32 s15, v35
	s_and_b64 s[14:15], s[10:11], s[14:15]
	s_mul_i32 s16, s15, 24
	s_mul_hi_u32 s17, s14, 24
	s_add_i32 s17, s17, s16
	s_mul_i32 s16, s14, 24
	s_waitcnt vmcnt(0)
	v_lshl_add_u64 v[34:35], v[22:23], 0, s[16:17]
	s_and_saveexec_b64 s[16:17], s[0:1]
	s_cbranch_execz .LBB1_346
; %bb.345:                              ;   in Loop: Header=BB1_282 Depth=1
	v_mov_b64_e32 v[6:7], s[12:13]
	global_store_dwordx4 v[34:35], v[6:9], off offset:8
.LBB1_346:                              ;   in Loop: Header=BB1_282 Depth=1
	s_or_b64 exec, exec, s[16:17]
	s_lshl_b64 s[12:13], s[14:15], 12
	v_lshl_add_u64 v[6:7], v[24:25], 0, s[12:13]
	v_or_b32_e32 v24, 0, v1
	v_cmp_lt_u64_e32 vcc, 56, v[26:27]
	v_or_b32_e32 v25, v0, v28
	v_readfirstlane_b32 s12, v6
	v_cndmask_b32_e32 v1, v24, v1, vcc
	v_lshl_add_u32 v24, v30, 2, 28
	v_cndmask_b32_e32 v0, v25, v0, vcc
	v_and_b32_e32 v24, 0x1e0, v24
	v_and_or_b32 v0, v0, s19, v24
	v_readfirstlane_b32 s13, v7
	s_nop 4
	global_store_dwordx4 v32, v[0:3], s[12:13]
	global_store_dwordx4 v32, v[10:13], s[12:13] offset:16
	global_store_dwordx4 v32, v[14:17], s[12:13] offset:32
	;; [unrolled: 1-line block ×3, first 2 shown]
	s_and_saveexec_b64 s[12:13], s[0:1]
	s_cbranch_execz .LBB1_354
; %bb.347:                              ;   in Loop: Header=BB1_282 Depth=1
	global_load_dwordx2 v[14:15], v33, s[2:3] offset:32 sc0 sc1
	global_load_dwordx2 v[0:1], v33, s[2:3] offset:40
	v_mov_b32_e32 v12, s10
	v_mov_b32_e32 v13, s11
	s_waitcnt vmcnt(0)
	v_readfirstlane_b32 s14, v0
	v_readfirstlane_b32 s15, v1
	s_and_b64 s[14:15], s[14:15], s[10:11]
	s_mul_i32 s15, s15, 24
	s_mul_hi_u32 s16, s14, 24
	s_mul_i32 s14, s14, 24
	s_add_i32 s15, s16, s15
	v_lshl_add_u64 v[10:11], v[22:23], 0, s[14:15]
	global_store_dwordx2 v[10:11], v[14:15], off
	buffer_wbl2 sc0 sc1
	s_waitcnt vmcnt(0)
	global_atomic_cmpswap_x2 v[2:3], v33, v[12:15], s[2:3] offset:32 sc0 sc1
	s_waitcnt vmcnt(0)
	v_cmp_ne_u64_e32 vcc, v[2:3], v[14:15]
	s_and_saveexec_b64 s[14:15], vcc
	s_cbranch_execz .LBB1_350
; %bb.348:                              ;   in Loop: Header=BB1_282 Depth=1
	s_mov_b64 s[16:17], 0
.LBB1_349:                              ;   Parent Loop BB1_282 Depth=1
                                        ; =>  This Inner Loop Header: Depth=2
	s_sleep 1
	global_store_dwordx2 v[10:11], v[2:3], off
	v_mov_b32_e32 v0, s10
	v_mov_b32_e32 v1, s11
	buffer_wbl2 sc0 sc1
	s_waitcnt vmcnt(0)
	global_atomic_cmpswap_x2 v[0:1], v33, v[0:3], s[2:3] offset:32 sc0 sc1
	s_waitcnt vmcnt(0)
	v_cmp_eq_u64_e32 vcc, v[0:1], v[2:3]
	s_or_b64 s[16:17], vcc, s[16:17]
	v_mov_b64_e32 v[2:3], v[0:1]
	s_andn2_b64 exec, exec, s[16:17]
	s_cbranch_execnz .LBB1_349
.LBB1_350:                              ;   in Loop: Header=BB1_282 Depth=1
	s_or_b64 exec, exec, s[14:15]
	global_load_dwordx2 v[0:1], v33, s[2:3] offset:16
	s_mov_b64 s[16:17], exec
	v_mbcnt_lo_u32_b32 v2, s16, 0
	v_mbcnt_hi_u32_b32 v2, s17, v2
	v_cmp_eq_u32_e32 vcc, 0, v2
	s_and_saveexec_b64 s[14:15], vcc
	s_cbranch_execz .LBB1_352
; %bb.351:                              ;   in Loop: Header=BB1_282 Depth=1
	s_bcnt1_i32_b64 s16, s[16:17]
	v_mov_b32_e32 v2, s16
	v_mov_b32_e32 v3, v33
	buffer_wbl2 sc0 sc1
	s_waitcnt vmcnt(0)
	global_atomic_add_x2 v[0:1], v[2:3], off offset:8 sc1
.LBB1_352:                              ;   in Loop: Header=BB1_282 Depth=1
	s_or_b64 exec, exec, s[14:15]
	s_waitcnt vmcnt(0)
	global_load_dwordx2 v[2:3], v[0:1], off offset:16
	s_waitcnt vmcnt(0)
	v_cmp_eq_u64_e32 vcc, 0, v[2:3]
	s_cbranch_vccnz .LBB1_354
; %bb.353:                              ;   in Loop: Header=BB1_282 Depth=1
	global_load_dword v0, v[0:1], off offset:24
	v_mov_b32_e32 v1, v33
	buffer_wbl2 sc0 sc1
	s_waitcnt vmcnt(0)
	global_store_dwordx2 v[2:3], v[0:1], off sc0 sc1
	v_and_b32_e32 v0, 0xffffff, v0
	s_nop 0
	v_readfirstlane_b32 m0, v0
	s_sendmsg sendmsg(MSG_INTERRUPT)
.LBB1_354:                              ;   in Loop: Header=BB1_282 Depth=1
	s_or_b64 exec, exec, s[12:13]
	v_lshl_add_u64 v[0:1], v[6:7], 0, v[32:33]
	s_branch .LBB1_358
.LBB1_355:                              ;   in Loop: Header=BB1_358 Depth=2
	s_or_b64 exec, exec, s[12:13]
	v_readfirstlane_b32 s12, v2
	s_cmp_eq_u32 s12, 0
	s_cbranch_scc1 .LBB1_357
; %bb.356:                              ;   in Loop: Header=BB1_358 Depth=2
	s_sleep 1
	s_cbranch_execnz .LBB1_358
	s_branch .LBB1_360
.LBB1_357:                              ;   in Loop: Header=BB1_282 Depth=1
	s_branch .LBB1_360
.LBB1_358:                              ;   Parent Loop BB1_282 Depth=1
                                        ; =>  This Inner Loop Header: Depth=2
	v_mov_b32_e32 v2, 1
	s_and_saveexec_b64 s[12:13], s[0:1]
	s_cbranch_execz .LBB1_355
; %bb.359:                              ;   in Loop: Header=BB1_358 Depth=2
	global_load_dword v2, v[34:35], off offset:20 sc0 sc1
	s_waitcnt vmcnt(0)
	buffer_inv sc0 sc1
	v_and_b32_e32 v2, 1, v2
	s_branch .LBB1_355
.LBB1_360:                              ;   in Loop: Header=BB1_282 Depth=1
	global_load_dwordx4 v[0:3], v[0:1], off
	s_and_saveexec_b64 s[12:13], s[0:1]
	s_cbranch_execz .LBB1_281
; %bb.361:                              ;   in Loop: Header=BB1_282 Depth=1
	global_load_dwordx2 v[2:3], v33, s[2:3] offset:40
	global_load_dwordx2 v[6:7], v33, s[2:3] offset:24 sc0 sc1
	global_load_dwordx2 v[14:15], v33, s[2:3]
	s_waitcnt vmcnt(2)
	v_lshl_add_u64 v[10:11], v[2:3], 0, 1
	v_lshl_add_u64 v[16:17], v[10:11], 0, s[10:11]
	v_cmp_eq_u64_e32 vcc, 0, v[16:17]
	s_waitcnt vmcnt(1)
	v_mov_b32_e32 v12, v6
	v_cndmask_b32_e32 v11, v17, v11, vcc
	v_cndmask_b32_e32 v10, v16, v10, vcc
	v_and_b32_e32 v3, v11, v3
	v_and_b32_e32 v2, v10, v2
	v_mul_lo_u32 v3, v3, 24
	v_mul_hi_u32 v13, v2, 24
	v_mul_lo_u32 v2, v2, 24
	v_add_u32_e32 v3, v13, v3
	s_waitcnt vmcnt(0)
	v_lshl_add_u64 v[2:3], v[14:15], 0, v[2:3]
	global_store_dwordx2 v[2:3], v[6:7], off
	v_mov_b32_e32 v13, v7
	buffer_wbl2 sc0 sc1
	s_waitcnt vmcnt(0)
	global_atomic_cmpswap_x2 v[12:13], v33, v[10:13], s[2:3] offset:24 sc0 sc1
	s_waitcnt vmcnt(0)
	v_cmp_ne_u64_e32 vcc, v[12:13], v[6:7]
	s_and_b64 exec, exec, vcc
	s_cbranch_execz .LBB1_281
; %bb.362:                              ;   in Loop: Header=BB1_282 Depth=1
	s_mov_b64 s[0:1], 0
.LBB1_363:                              ;   Parent Loop BB1_282 Depth=1
                                        ; =>  This Inner Loop Header: Depth=2
	s_sleep 1
	global_store_dwordx2 v[2:3], v[12:13], off
	buffer_wbl2 sc0 sc1
	s_waitcnt vmcnt(0)
	global_atomic_cmpswap_x2 v[6:7], v33, v[10:13], s[2:3] offset:24 sc0 sc1
	s_waitcnt vmcnt(0)
	v_cmp_eq_u64_e32 vcc, v[6:7], v[12:13]
	s_or_b64 s[0:1], vcc, s[0:1]
	v_mov_b64_e32 v[12:13], v[6:7]
	s_andn2_b64 exec, exec, s[0:1]
	s_cbranch_execnz .LBB1_363
	s_branch .LBB1_281
.LBB1_364:
	s_or_b64 exec, exec, s[4:5]
                                        ; implicit-def: $vgpr32
                                        ; implicit-def: $vgpr38
.LBB1_365:
	s_andn2_saveexec_b64 s[4:5], s[6:7]
	s_cbranch_execz .LBB1_392
; %bb.366:
	v_readfirstlane_b32 s0, v38
	s_waitcnt vmcnt(0)
	v_mov_b64_e32 v[2:3], 0
	v_cmp_eq_u32_e64 s[0:1], s0, v38
	s_and_saveexec_b64 s[6:7], s[0:1]
	s_cbranch_execz .LBB1_372
; %bb.367:
	v_mov_b32_e32 v4, 0
	global_load_dwordx2 v[8:9], v4, s[2:3] offset:24 sc0 sc1
	s_waitcnt vmcnt(0)
	buffer_inv sc0 sc1
	global_load_dwordx2 v[2:3], v4, s[2:3] offset:40
	global_load_dwordx2 v[6:7], v4, s[2:3]
	s_waitcnt vmcnt(1)
	v_and_b32_e32 v2, v2, v8
	v_and_b32_e32 v3, v3, v9
	v_mul_lo_u32 v3, v3, 24
	v_mul_hi_u32 v5, v2, 24
	v_add_u32_e32 v3, v5, v3
	v_mul_lo_u32 v2, v2, 24
	s_waitcnt vmcnt(0)
	v_lshl_add_u64 v[2:3], v[6:7], 0, v[2:3]
	global_load_dwordx2 v[6:7], v[2:3], off sc0 sc1
	s_waitcnt vmcnt(0)
	global_atomic_cmpswap_x2 v[2:3], v4, v[6:9], s[2:3] offset:24 sc0 sc1
	s_waitcnt vmcnt(0)
	buffer_inv sc0 sc1
	v_cmp_ne_u64_e32 vcc, v[2:3], v[8:9]
	s_and_saveexec_b64 s[10:11], vcc
	s_cbranch_execz .LBB1_371
; %bb.368:
	s_mov_b64 s[12:13], 0
.LBB1_369:                              ; =>This Inner Loop Header: Depth=1
	s_sleep 1
	global_load_dwordx2 v[6:7], v4, s[2:3] offset:40
	global_load_dwordx2 v[10:11], v4, s[2:3]
	v_mov_b64_e32 v[8:9], v[2:3]
	s_waitcnt vmcnt(1)
	v_and_b32_e32 v2, v6, v8
	s_waitcnt vmcnt(0)
	v_mad_u64_u32 v[2:3], s[14:15], v2, 24, v[10:11]
	v_and_b32_e32 v5, v7, v9
	v_mov_b32_e32 v6, v3
	v_mad_u64_u32 v[6:7], s[14:15], v5, 24, v[6:7]
	v_mov_b32_e32 v3, v6
	global_load_dwordx2 v[6:7], v[2:3], off sc0 sc1
	s_waitcnt vmcnt(0)
	global_atomic_cmpswap_x2 v[2:3], v4, v[6:9], s[2:3] offset:24 sc0 sc1
	s_waitcnt vmcnt(0)
	buffer_inv sc0 sc1
	v_cmp_eq_u64_e32 vcc, v[2:3], v[8:9]
	s_or_b64 s[12:13], vcc, s[12:13]
	s_andn2_b64 exec, exec, s[12:13]
	s_cbranch_execnz .LBB1_369
; %bb.370:
	s_or_b64 exec, exec, s[12:13]
.LBB1_371:
	s_or_b64 exec, exec, s[10:11]
.LBB1_372:
	s_or_b64 exec, exec, s[6:7]
	v_mov_b32_e32 v33, 0
	global_load_dwordx2 v[8:9], v33, s[2:3] offset:40
	global_load_dwordx4 v[4:7], v33, s[2:3]
	v_readfirstlane_b32 s6, v2
	v_readfirstlane_b32 s7, v3
	s_mov_b64 s[10:11], exec
	s_waitcnt vmcnt(1)
	v_readfirstlane_b32 s12, v8
	v_readfirstlane_b32 s13, v9
	s_and_b64 s[12:13], s[6:7], s[12:13]
	s_mul_i32 s14, s13, 24
	s_mul_hi_u32 s15, s12, 24
	s_add_i32 s15, s15, s14
	s_mul_i32 s14, s12, 24
	s_waitcnt vmcnt(0)
	v_lshl_add_u64 v[8:9], v[4:5], 0, s[14:15]
	s_and_saveexec_b64 s[14:15], s[0:1]
	s_cbranch_execz .LBB1_374
; %bb.373:
	v_mov_b64_e32 v[10:11], s[10:11]
	v_mov_b32_e32 v12, 2
	v_mov_b32_e32 v13, 1
	global_store_dwordx4 v[8:9], v[10:13], off offset:8
.LBB1_374:
	s_or_b64 exec, exec, s[14:15]
	s_lshl_b64 s[10:11], s[12:13], 12
	v_lshl_add_u64 v[6:7], v[6:7], 0, s[10:11]
	s_movk_i32 s10, 0xff1f
	s_mov_b32 s12, 0
	v_and_or_b32 v0, v0, s10, 32
	v_mov_b32_e32 v2, v33
	v_mov_b32_e32 v3, v33
	v_readfirstlane_b32 s10, v6
	v_readfirstlane_b32 s11, v7
	s_mov_b32 s13, s12
	s_mov_b32 s14, s12
	s_mov_b32 s15, s12
	s_nop 1
	global_store_dwordx4 v32, v[0:3], s[10:11]
	s_nop 1
	v_mov_b64_e32 v[0:1], s[12:13]
	v_mov_b64_e32 v[2:3], s[14:15]
	global_store_dwordx4 v32, v[0:3], s[10:11] offset:16
	global_store_dwordx4 v32, v[0:3], s[10:11] offset:32
	;; [unrolled: 1-line block ×3, first 2 shown]
	s_and_saveexec_b64 s[10:11], s[0:1]
	s_cbranch_execz .LBB1_382
; %bb.375:
	v_mov_b32_e32 v10, 0
	global_load_dwordx2 v[14:15], v10, s[2:3] offset:32 sc0 sc1
	global_load_dwordx2 v[0:1], v10, s[2:3] offset:40
	v_mov_b32_e32 v12, s6
	v_mov_b32_e32 v13, s7
	s_waitcnt vmcnt(0)
	v_readfirstlane_b32 s12, v0
	v_readfirstlane_b32 s13, v1
	s_and_b64 s[12:13], s[12:13], s[6:7]
	s_mul_i32 s13, s13, 24
	s_mul_hi_u32 s14, s12, 24
	s_mul_i32 s12, s12, 24
	s_add_i32 s13, s14, s13
	v_lshl_add_u64 v[4:5], v[4:5], 0, s[12:13]
	global_store_dwordx2 v[4:5], v[14:15], off
	buffer_wbl2 sc0 sc1
	s_waitcnt vmcnt(0)
	global_atomic_cmpswap_x2 v[2:3], v10, v[12:15], s[2:3] offset:32 sc0 sc1
	s_waitcnt vmcnt(0)
	v_cmp_ne_u64_e32 vcc, v[2:3], v[14:15]
	s_and_saveexec_b64 s[12:13], vcc
	s_cbranch_execz .LBB1_378
; %bb.376:
	s_mov_b64 s[14:15], 0
.LBB1_377:                              ; =>This Inner Loop Header: Depth=1
	s_sleep 1
	global_store_dwordx2 v[4:5], v[2:3], off
	v_mov_b32_e32 v0, s6
	v_mov_b32_e32 v1, s7
	buffer_wbl2 sc0 sc1
	s_waitcnt vmcnt(0)
	global_atomic_cmpswap_x2 v[0:1], v10, v[0:3], s[2:3] offset:32 sc0 sc1
	s_waitcnt vmcnt(0)
	v_cmp_eq_u64_e32 vcc, v[0:1], v[2:3]
	s_or_b64 s[14:15], vcc, s[14:15]
	v_mov_b64_e32 v[2:3], v[0:1]
	s_andn2_b64 exec, exec, s[14:15]
	s_cbranch_execnz .LBB1_377
.LBB1_378:
	s_or_b64 exec, exec, s[12:13]
	v_mov_b32_e32 v3, 0
	global_load_dwordx2 v[0:1], v3, s[2:3] offset:16
	s_mov_b64 s[12:13], exec
	v_mbcnt_lo_u32_b32 v2, s12, 0
	v_mbcnt_hi_u32_b32 v2, s13, v2
	v_cmp_eq_u32_e32 vcc, 0, v2
	s_and_saveexec_b64 s[14:15], vcc
	s_cbranch_execz .LBB1_380
; %bb.379:
	s_bcnt1_i32_b64 s12, s[12:13]
	v_mov_b32_e32 v2, s12
	buffer_wbl2 sc0 sc1
	s_waitcnt vmcnt(0)
	global_atomic_add_x2 v[0:1], v[2:3], off offset:8 sc1
.LBB1_380:
	s_or_b64 exec, exec, s[14:15]
	s_waitcnt vmcnt(0)
	global_load_dwordx2 v[2:3], v[0:1], off offset:16
	s_waitcnt vmcnt(0)
	v_cmp_eq_u64_e32 vcc, 0, v[2:3]
	s_cbranch_vccnz .LBB1_382
; %bb.381:
	global_load_dword v0, v[0:1], off offset:24
	v_mov_b32_e32 v1, 0
	buffer_wbl2 sc0 sc1
	s_waitcnt vmcnt(0)
	global_store_dwordx2 v[2:3], v[0:1], off sc0 sc1
	v_and_b32_e32 v0, 0xffffff, v0
	s_nop 0
	v_readfirstlane_b32 m0, v0
	s_sendmsg sendmsg(MSG_INTERRUPT)
.LBB1_382:
	s_or_b64 exec, exec, s[10:11]
	v_lshl_add_u64 v[0:1], v[6:7], 0, v[32:33]
	s_branch .LBB1_386
.LBB1_383:                              ;   in Loop: Header=BB1_386 Depth=1
	s_or_b64 exec, exec, s[10:11]
	v_readfirstlane_b32 s10, v2
	s_cmp_eq_u32 s10, 0
	s_cbranch_scc1 .LBB1_385
; %bb.384:                              ;   in Loop: Header=BB1_386 Depth=1
	s_sleep 1
	s_cbranch_execnz .LBB1_386
	s_branch .LBB1_388
.LBB1_385:
	s_branch .LBB1_388
.LBB1_386:                              ; =>This Inner Loop Header: Depth=1
	v_mov_b32_e32 v2, 1
	s_and_saveexec_b64 s[10:11], s[0:1]
	s_cbranch_execz .LBB1_383
; %bb.387:                              ;   in Loop: Header=BB1_386 Depth=1
	global_load_dword v2, v[8:9], off offset:20 sc0 sc1
	s_waitcnt vmcnt(0)
	buffer_inv sc0 sc1
	v_and_b32_e32 v2, 1, v2
	s_branch .LBB1_383
.LBB1_388:
	global_load_dwordx2 v[0:1], v[0:1], off
	s_and_saveexec_b64 s[10:11], s[0:1]
	s_cbranch_execz .LBB1_391
; %bb.389:
	v_mov_b32_e32 v8, 0
	global_load_dwordx2 v[6:7], v8, s[2:3] offset:40
	global_load_dwordx2 v[10:11], v8, s[2:3] offset:24 sc0 sc1
	global_load_dwordx2 v[12:13], v8, s[2:3]
	s_mov_b64 s[0:1], 0
	s_waitcnt vmcnt(2)
	v_lshl_add_u64 v[2:3], v[6:7], 0, 1
	v_lshl_add_u64 v[14:15], v[2:3], 0, s[6:7]
	v_cmp_eq_u64_e32 vcc, 0, v[14:15]
	s_waitcnt vmcnt(1)
	v_mov_b32_e32 v4, v10
	v_cndmask_b32_e32 v3, v15, v3, vcc
	v_cndmask_b32_e32 v2, v14, v2, vcc
	v_and_b32_e32 v5, v3, v7
	v_and_b32_e32 v6, v2, v6
	v_mul_lo_u32 v5, v5, 24
	v_mul_hi_u32 v7, v6, 24
	v_mul_lo_u32 v6, v6, 24
	v_add_u32_e32 v7, v7, v5
	s_waitcnt vmcnt(0)
	v_lshl_add_u64 v[6:7], v[12:13], 0, v[6:7]
	global_store_dwordx2 v[6:7], v[10:11], off
	v_mov_b32_e32 v5, v11
	buffer_wbl2 sc0 sc1
	s_waitcnt vmcnt(0)
	global_atomic_cmpswap_x2 v[4:5], v8, v[2:5], s[2:3] offset:24 sc0 sc1
	s_waitcnt vmcnt(0)
	v_cmp_ne_u64_e32 vcc, v[4:5], v[10:11]
	s_and_b64 exec, exec, vcc
	s_cbranch_execz .LBB1_391
.LBB1_390:                              ; =>This Inner Loop Header: Depth=1
	s_sleep 1
	global_store_dwordx2 v[6:7], v[4:5], off
	buffer_wbl2 sc0 sc1
	s_waitcnt vmcnt(0)
	global_atomic_cmpswap_x2 v[10:11], v8, v[2:5], s[2:3] offset:24 sc0 sc1
	s_waitcnt vmcnt(0)
	v_cmp_eq_u64_e32 vcc, v[10:11], v[4:5]
	s_or_b64 s[0:1], vcc, s[0:1]
	v_mov_b64_e32 v[4:5], v[10:11]
	s_andn2_b64 exec, exec, s[0:1]
	s_cbranch_execnz .LBB1_390
.LBB1_391:
	s_or_b64 exec, exec, s[10:11]
.LBB1_392:
	s_or_b64 exec, exec, s[4:5]
	s_getpc_b64 s[0:1]
	s_add_u32 s0, s0, .str.1@rel32@lo+4
	s_addc_u32 s1, s1, .str.1@rel32@hi+12
	s_getpc_b64 s[2:3]
	s_add_u32 s2, s2, .str.1@rel32@lo+32
	s_addc_u32 s3, s3, .str.1@rel32@hi+40
	s_sub_i32 s4, s2, s0
	s_ashr_i32 s5, s4, 31
	s_waitcnt vmcnt(0)
	v_mov_b32_e32 v2, s0
	v_mov_b32_e32 v3, s1
	v_mov_b32_e32 v4, s4
	v_mov_b32_e32 v5, s5
	v_mov_b32_e32 v6, 1
	s_getpc_b64 s[2:3]
	s_add_u32 s2, s2, __ockl_fprintf_append_string_n@rel32@lo+4
	s_addc_u32 s3, s3, __ockl_fprintf_append_string_n@rel32@hi+12
	s_swappc_b64 s[30:31], s[2:3]
	s_trap 2
.Lfunc_end1:
	.size	__assert_fail, .Lfunc_end1-__assert_fail
                                        ; -- End function
	.section	.AMDGPU.csdata,"",@progbits
; Function info:
; codeLenInByte = 14360
; NumSgprs: 40
; NumVgprs: 40
; NumAgprs: 0
; TotalNumVgprs: 40
; ScratchSize: 64
; MemoryBound: 0
	.text
	.p2align	2                               ; -- Begin function _ZN12_GLOBAL__N_17runRingI12hip_bfloat168FuncProdIS1_E11ProtoSimpleILi1ELi1ELi0ELi1ELi0ELi0EELi0ELi1ELi0EEEviiP15ncclDevWorkColl
	.type	_ZN12_GLOBAL__N_17runRingI12hip_bfloat168FuncProdIS1_E11ProtoSimpleILi1ELi1ELi0ELi1ELi0ELi0EELi0ELi1ELi0EEEviiP15ncclDevWorkColl,@function
_ZN12_GLOBAL__N_17runRingI12hip_bfloat168FuncProdIS1_E11ProtoSimpleILi1ELi1ELi0ELi1ELi0ELi0EELi0ELi1ELi0EEEviiP15ncclDevWorkColl: ; @_ZN12_GLOBAL__N_17runRingI12hip_bfloat168FuncProdIS1_E11ProtoSimpleILi1ELi1ELi0ELi1ELi0ELi0EELi0ELi1ELi0EEEviiP15ncclDevWorkColl
; %bb.0:
	s_waitcnt vmcnt(0) expcnt(0) lgkmcnt(0)
	s_mov_b32 s0, s33
	s_mov_b32 s33, s32
	s_or_saveexec_b64 s[2:3], -1
	scratch_store_dword off, v63, s33       ; 4-byte Folded Spill
	s_mov_b64 exec, s[2:3]
	v_writelane_b32 v63, s0, 34
	v_accvgpr_write_b32 a14, v40            ;  Reload Reuse
	s_add_i32 s32, s32, 16
	v_accvgpr_write_b32 a15, v41            ;  Reload Reuse
	v_accvgpr_write_b32 a16, v42            ;  Reload Reuse
	;; [unrolled: 1-line block ×14, first 2 shown]
	v_writelane_b32 v63, s34, 0
	v_writelane_b32 v63, s35, 1
	;; [unrolled: 1-line block ×33, first 2 shown]
	s_nop 1
	v_writelane_b32 v63, s31, 33
	s_trap 2
	ds_read_b64 v[14:15], v0
	ds_read_b32 v6, v0
	flat_load_ushort v17, v[2:3] offset:8
	flat_load_dwordx2 v[8:9], v[2:3]
                                        ; implicit-def: $vgpr32_vgpr33
                                        ; implicit-def: $vgpr18_vgpr19
	s_waitcnt lgkmcnt(0)
	v_ashrrev_i32_e32 v5, 31, v15
	v_mov_b32_e32 v4, v15
	v_lshlrev_b64 v[4:5], 2, v[4:5]
	v_lshl_add_u64 v[4:5], v[14:15], 0, v[4:5]
	v_add_co_u32_e32 v4, vcc, -4, v4
	s_waitcnt vmcnt(0)
	v_mov_b32_e32 v16, v9
	v_addc_co_u32_e32 v5, vcc, -1, v5, vcc
	flat_load_dword v20, v[4:5]
	v_cmp_ne_u32_sdwa s[0:1], v8, v6 src0_sel:BYTE_0 src1_sel:DWORD
                                        ; implicit-def: $vgpr4_vgpr5
	s_and_saveexec_b64 s[2:3], s[0:1]
	s_xor_b64 s[0:1], exec, s[2:3]
	s_cbranch_execz .LBB2_6
; %bb.1:
	v_not_b32_sdwa v9, v8 dst_sel:DWORD dst_unused:UNUSED_PAD src0_sel:BYTE_0
	v_cmp_ne_u32_sdwa s[2:3], v8, v6 src0_sel:BYTE_1 src1_sel:DWORD
                                        ; implicit-def: $vgpr32_vgpr33
                                        ; implicit-def: $vgpr4_vgpr5
                                        ; implicit-def: $vgpr18_vgpr19
	s_and_saveexec_b64 s[4:5], s[2:3]
	s_xor_b64 s[2:3], exec, s[4:5]
	s_cbranch_execz .LBB2_3
; %bb.2:
	flat_load_dwordx4 v[10:13], v[2:3] offset:72
	flat_load_dwordx2 v[4:5], v[2:3] offset:96
	v_add_u32_e32 v6, v6, v9
	v_ashrrev_i32_e32 v7, 31, v6
                                        ; implicit-def: $vgpr8
                                        ; implicit-def: $vgpr9
	s_waitcnt vmcnt(0) lgkmcnt(0)
	v_mul_lo_u32 v7, v12, v7
	v_mad_u64_u32 v[18:19], s[4:5], v12, v6, v[10:11]
	v_mul_lo_u32 v6, v13, v6
	v_lshrrev_b64 v[32:33], 13, v[4:5]
	v_add3_u32 v19, v6, v19, v7
	v_mov_b64_e32 v[4:5], v[12:13]
.LBB2_3:
	s_andn2_saveexec_b64 s[2:3], s[2:3]
	s_cbranch_execz .LBB2_5
; %bb.4:
	flat_load_dwordx4 v[10:13], v[2:3] offset:72
	flat_load_dwordx4 v[4:7], v[2:3] offset:88
	s_waitcnt vmcnt(0) lgkmcnt(0)
	v_add_u32_sdwa v6, v8, v9 dst_sel:DWORD dst_unused:UNUSED_PAD src0_sel:BYTE_1 src1_sel:DWORD
	v_ashrrev_i32_e32 v8, 31, v6
	v_mul_lo_u32 v8, v12, v8
	v_mad_u64_u32 v[18:19], s[4:5], v12, v6, v[10:11]
	v_mul_lo_u32 v6, v13, v6
	v_add3_u32 v19, v6, v19, v8
	v_lshrrev_b32_e32 v32, 2, v7
.LBB2_5:
	s_or_b64 exec, exec, s[2:3]
.LBB2_6:
	s_andn2_saveexec_b64 s[0:1], s[0:1]
	s_cbranch_execz .LBB2_8
; %bb.7:
	flat_load_dwordx2 v[6:7], v[2:3] offset:96
	flat_load_dwordx2 v[4:5], v[2:3] offset:72
	v_mov_b64_e32 v[18:19], 0
	s_waitcnt vmcnt(0) lgkmcnt(0)
	v_lshlrev_b64 v[32:33], 8, v[6:7]
.LBB2_8:
	s_or_b64 exec, exec, s[0:1]
	s_trap 2
	ds_read_b64 v[6:7], v0
	s_waitcnt lgkmcnt(0)
	v_cmp_ne_u32_e32 vcc, -1, v6
	s_nop 1
	v_cndmask_b32_e64 v15, 0, 1, vcc
	v_cmp_ne_u32_e32 vcc, -1, v7
	s_nop 1
	v_addc_co_u32_e64 v6, s[0:1], 0, v15, vcc
	v_lshlrev_b32_e32 v7, 1, v6
	v_cmp_le_i32_e64 s[0:1], v7, v1
	s_and_saveexec_b64 s[2:3], s[0:1]
	s_xor_b64 s[20:21], exec, s[2:3]
	s_cbranch_execz .LBB2_764
; %bb.9:
	flat_load_dwordx4 v[10:13], v[2:3] offset:16
	flat_load_dwordx2 v[34:35], v[2:3] offset:104
	s_trap 2
	s_load_dword s0, s[8:9], 0x0
	v_mov_b32_e32 v2, 0
	v_mov_b32_e32 v62, 4
	s_waitcnt lgkmcnt(0)
	s_cmp_lt_u32 s12, s0
	s_cselect_b32 s0, 12, 18
	s_add_u32 s0, s8, s0
	s_addc_u32 s1, s9, 0
	global_load_ushort v21, v2, s[0:1]
	ds_read_b32 v2, v0
	v_cmp_ge_i32_e64 s[0:1], v0, v15
	s_waitcnt lgkmcnt(0)
	v_readfirstlane_b32 s6, v2
	s_and_saveexec_b64 s[2:3], s[0:1]
	s_cbranch_execz .LBB2_19
; %bb.10:
	v_cmp_le_u32_e64 s[0:1], v6, v0
                                        ; implicit-def: $vgpr62
	s_and_saveexec_b64 s[4:5], s[0:1]
	s_xor_b64 s[0:1], exec, s[4:5]
	s_cbranch_execz .LBB2_16
; %bb.11:
	v_cndmask_b32_e64 v2, 0, 1, vcc
	v_sub_u32_e32 v2, v1, v2
	v_cmp_ge_u32_e32 vcc, v0, v2
                                        ; implicit-def: $sgpr7
	s_and_saveexec_b64 s[4:5], vcc
	s_xor_b64 s[4:5], exec, s[4:5]
; %bb.12:
	s_mov_b32 s7, 16
                                        ; implicit-def: $vgpr6
; %bb.13:
	s_or_saveexec_b64 s[4:5], s[4:5]
	v_mov_b32_e32 v62, s7
	s_xor_b64 exec, exec, s[4:5]
; %bb.14:
	v_sub_u32_e32 v2, v1, v6
	v_cmp_ge_i32_e32 vcc, v0, v2
	s_nop 1
	v_cndmask_b32_e64 v2, 0, 1, vcc
	v_lshlrev_b32_e32 v62, 5, v2
; %bb.15:
	s_or_b64 exec, exec, s[4:5]
.LBB2_16:
	s_andn2_saveexec_b64 s[0:1], s[0:1]
; %bb.17:
	v_mov_b32_e32 v62, 8
; %bb.18:
	s_or_b64 exec, exec, s[0:1]
.LBB2_19:
	s_or_b64 exec, exec, s[2:3]
	v_and_b32_e32 v2, 36, v62
	v_cmp_ne_u32_e32 vcc, 0, v2
	v_mov_b32_e32 v38, -1
	s_and_saveexec_b64 s[0:1], vcc
	s_cbranch_execz .LBB2_21
; %bb.20:
	s_trap 2
	ds_read_b32 v38, v0
.LBB2_21:
	s_or_b64 exec, exec, s[0:1]
	v_and_b32_e32 v2, 24, v62
	v_cmp_ne_u32_e64 s[0:1], 0, v2
	s_and_saveexec_b64 s[2:3], s[0:1]
	s_cbranch_execz .LBB2_23
; %bb.22:
	s_trap 2
	s_waitcnt lgkmcnt(0)
	ds_read_b32 v38, v0
.LBB2_23:
	s_or_b64 exec, exec, s[2:3]
	v_lshrrev_b64 v[2:3], 31, v[16:17]
	v_mov_b64_e32 v[22:23], 0
	v_and_b32_e32 v2, 3, v2
	s_waitcnt lgkmcnt(0)
	v_ashrrev_i32_e32 v39, 31, v38
	v_mov_b64_e32 v[6:7], v[22:23]
                                        ; implicit-def: $agpr2_agpr3
                                        ; implicit-def: $vgpr60
                                        ; implicit-def: $vgpr28_vgpr29
                                        ; implicit-def: $vgpr26_vgpr27
                                        ; implicit-def: $vgpr24_vgpr25
	s_and_saveexec_b64 s[0:1], vcc
	s_cbranch_execz .LBB2_33
; %bb.24:
	s_trap 2
	ds_read_b64 v[6:7], v0
	v_and_b32_e32 v3, 0xffff, v2
	s_movk_i32 s2, 0xa8
                                        ; implicit-def: $agpr2_agpr3
	s_waitcnt lgkmcnt(0)
	v_lshl_add_u64 v[6:7], v[38:39], 3, v[6:7]
	flat_load_dwordx2 v[6:7], v[6:7]
	s_waitcnt vmcnt(0) lgkmcnt(0)
	v_mad_u64_u32 v[6:7], s[2:3], v3, s2, v[6:7]
	flat_load_dword v3, v[6:7] offset:640
	s_mov_b64 s[2:3], 0x1f8
	v_lshl_add_u64 v[22:23], v[6:7], 0, s[2:3]
	s_waitcnt vmcnt(0) lgkmcnt(0)
	v_cmp_eq_u32_e32 vcc, 1, v3
	s_and_saveexec_b64 s[2:3], vcc
	s_cbranch_execz .LBB2_26
; %bb.25:
	flat_load_dwordx2 v[8:9], v[22:23] offset:144
	v_or_b32_e32 v62, 0x2000, v62
	s_waitcnt vmcnt(0) lgkmcnt(0)
	flat_load_dwordx2 v[6:7], v[8:9]
	s_trap 2
	v_accvgpr_write_b32 a2, v8
	v_accvgpr_write_b32 a3, v9
	s_waitcnt vmcnt(0) lgkmcnt(0)
	ds_write_b64 v0, v[6:7]
	flat_load_dwordx2 v[6:7], v[8:9] offset:8
	s_waitcnt vmcnt(0) lgkmcnt(0)
	ds_write_b64 v0, v[6:7]
	flat_load_dwordx2 v[6:7], v[8:9] offset:16
	s_waitcnt vmcnt(0) lgkmcnt(0)
	ds_write_b64 v0, v[6:7]
.LBB2_26:
	s_or_b64 exec, exec, s[2:3]
	flat_load_dwordx2 v[8:9], v[22:23] offset:104
	v_and_b32_e32 v3, 32, v62
	v_cmp_ne_u32_e32 vcc, 0, v3
                                        ; implicit-def: $vgpr24_vgpr25
	s_and_saveexec_b64 s[2:3], vcc
	s_cbranch_execz .LBB2_28
; %bb.27:
	flat_load_dwordx2 v[24:25], v[22:23] offset:56
	s_waitcnt vmcnt(0) lgkmcnt(0)
	flat_store_dwordx2 v[24:25], v[8:9] sc0 sc1
.LBB2_28:
	s_or_b64 exec, exec, s[2:3]
	v_and_b32_e32 v3, 4, v62
	v_cmp_ne_u32_e32 vcc, 0, v3
	v_mov_b64_e32 v[6:7], 0
                                        ; implicit-def: $vgpr60
                                        ; implicit-def: $vgpr28_vgpr29
                                        ; implicit-def: $vgpr26_vgpr27
	s_and_saveexec_b64 s[2:3], vcc
	s_cbranch_execz .LBB2_32
; %bb.29:
	v_and_b32_e32 v3, 0x800, v62
	v_cmp_eq_u32_e32 vcc, 0, v3
	s_and_saveexec_b64 s[4:5], vcc
	s_cbranch_execz .LBB2_31
; %bb.30:
	s_trap 2
	ds_write_b64 v0, v[22:23]
.LBB2_31:
	s_or_b64 exec, exec, s[4:5]
	flat_load_dwordx2 v[24:25], v[22:23] offset:48
	v_or_b32_e32 v17, 0x100, v62
	s_waitcnt vmcnt(0) lgkmcnt(0)
	flat_load_dwordx2 v[28:29], v[24:25] sc0 sc1
	flat_load_dword v3, v[22:23] offset:72
	flat_load_dwordx2 v[6:7], v[22:23] offset:96
	flat_load_dwordx2 v[26:27], v[22:23] offset:16
	s_waitcnt vmcnt(0) lgkmcnt(0)
	v_ashrrev_i32_e32 v60, 1, v3
	v_cmp_eq_u64_e32 vcc, 0, v[6:7]
	s_nop 1
	v_cndmask_b32_e32 v62, v17, v62, vcc
.LBB2_32:
	s_or_b64 exec, exec, s[2:3]
.LBB2_33:
	s_or_b64 exec, exec, s[0:1]
	v_and_b32_e32 v3, 24, v62
	v_cmp_ne_u32_e32 vcc, 0, v3
                                        ; implicit-def: $vgpr58_vgpr59
	s_and_saveexec_b64 s[0:1], vcc
	s_cbranch_execz .LBB2_41
; %bb.34:
	s_trap 2
	ds_read_b64 v[6:7], v0
	v_and_b32_e32 v2, 0xffff, v2
	s_movk_i32 s2, 0xa8
                                        ; implicit-def: $vgpr58_vgpr59
	s_waitcnt lgkmcnt(0)
	v_lshl_add_u64 v[6:7], v[38:39], 3, v[6:7]
	flat_load_dwordx2 v[6:7], v[6:7]
	s_waitcnt vmcnt(0) lgkmcnt(0)
	v_mad_u64_u32 v[22:23], s[2:3], v2, s2, v[6:7]
	flat_load_dwordx4 v[6:9], v[22:23] offset:96
	v_or_b32_e32 v2, 0x100, v62
	s_waitcnt vmcnt(0) lgkmcnt(0)
	v_cmp_eq_u64_e32 vcc, 0, v[6:7]
	s_nop 1
	v_cndmask_b32_e32 v62, v2, v62, vcc
	v_and_b32_e32 v2, 16, v62
	v_cmp_ne_u32_e32 vcc, 0, v2
	s_and_saveexec_b64 s[2:3], vcc
	s_cbranch_execz .LBB2_36
; %bb.35:
	flat_load_dwordx2 v[58:59], v[22:23] offset:120
	flat_load_dwordx2 v[24:25], v[22:23] offset:48
	;; [unrolled: 1-line block ×3, first 2 shown]
.LBB2_36:
	s_or_b64 exec, exec, s[2:3]
	v_and_b32_e32 v2, 8, v62
	v_cmp_ne_u32_e32 vcc, 0, v2
	s_and_saveexec_b64 s[2:3], vcc
	s_cbranch_execz .LBB2_40
; %bb.37:
	v_and_b32_e32 v2, 0x800, v62
	v_cmp_eq_u32_e32 vcc, 0, v2
	s_and_saveexec_b64 s[4:5], vcc
	s_cbranch_execz .LBB2_39
; %bb.38:
	s_trap 2
	ds_write_b64 v0, v[22:23]
.LBB2_39:
	s_or_b64 exec, exec, s[4:5]
	s_waitcnt vmcnt(0) lgkmcnt(0)
	flat_load_dwordx2 v[24:25], v[22:23] offset:56
	s_waitcnt vmcnt(0) lgkmcnt(0)
	flat_load_dwordx2 v[28:29], v[24:25] sc0 sc1
	flat_load_dword v2, v[22:23] offset:72
	flat_load_dwordx2 v[26:27], v[22:23] offset:16
	s_waitcnt vmcnt(0) lgkmcnt(0)
	v_ashrrev_i32_e32 v60, 1, v2
.LBB2_40:
	s_or_b64 exec, exec, s[2:3]
.LBB2_41:
	s_or_b64 exec, exec, s[0:1]
	v_cmp_eq_u32_e64 s[0:1], 0, v0
	s_and_saveexec_b64 s[2:3], s[0:1]
	s_cbranch_execz .LBB2_43
; %bb.42:
	s_waitcnt vmcnt(0)
	v_mov_b32_e32 v2, v12
	v_mov_b32_e32 v3, v13
	ds_write2_b64 v0, v[2:3], v[10:11] offset1:1
	v_mov_b32_e32 v2, 0
	v_mov_b32_e32 v3, v2
	s_trap 2
	ds_write_b64 v0, v[2:3]
	ds_write_b64 v0, v[34:35]
.LBB2_43:
	s_or_b64 exec, exec, s[2:3]
	s_ashr_i32 s2, s6, 31
	s_lshr_b32 s2, s2, 29
	s_add_i32 s6, s6, s2
	v_bfe_u32 v2, v16, 1, 30
	s_waitcnt vmcnt(0)
	v_and_b32_e32 v34, 0x1fffff00, v32
	v_mov_b32_e32 v35, 0
	s_ashr_i32 s58, s6, 4
	v_cmp_ne_u32_e32 vcc, v20, v2
                                        ; implicit-def: $vgpr32_vgpr33
	s_and_saveexec_b64 s[2:3], vcc
	s_xor_b64 s[22:23], exec, s[2:3]
	s_cbranch_execz .LBB2_555
; %bb.44:
	v_cmp_ne_u32_e32 vcc, v14, v2
	v_cmp_ne_u64_e64 s[2:3], 0, v[4:5]
                                        ; implicit-def: $vgpr32_vgpr33
	s_and_saveexec_b64 s[4:5], vcc
	s_xor_b64 s[24:25], exec, s[4:5]
	s_cbranch_execz .LBB2_303
; %bb.45:
	v_mov_b64_e32 v[32:33], 0
	s_and_saveexec_b64 s[26:27], s[2:3]
	s_cbranch_execz .LBB2_302
; %bb.46:
	v_and_b32_e32 v2, 63, v31
	v_cmp_eq_u32_e64 s[10:11], 0, v2
	v_ashrrev_i32_e32 v2, 31, v0
	v_lshrrev_b32_e32 v2, 26, v2
	v_add_u32_e32 v2, v0, v2
	v_and_b32_e32 v3, 0xffffffc0, v2
	v_ashrrev_i32_e32 v2, 6, v2
	v_sub_u32_e32 v2, 0, v2
	v_sub_u32_e32 v3, v0, v3
	v_accvgpr_write_b32 a8, v2
	v_lshlrev_b32_e32 v2, 4, v0
	v_lshrrev_b32_e32 v48, 6, v1
	v_cmp_le_i32_e64 s[12:13], v3, v15
	v_accvgpr_write_b32 a5, v3
	v_cmp_lt_i32_e64 s[14:15], v3, v15
	v_ashrrev_i32_e32 v3, 31, v2
	v_accvgpr_write_b32 a11, v3
	v_lshlrev_b32_e32 v38, 10, v48
	v_accvgpr_write_b32 a10, v2
	v_add_u32_e32 v2, 0xfffffc00, v38
	v_ashrrev_i32_e32 v3, 31, v2
	s_mov_b64 s[16:17], 0x400
	v_lshl_add_u64 v[54:55], v[2:3], 0, s[16:17]
	v_mov_b32_e32 v2, 0xfffffe00
	v_lshl_add_u32 v2, v48, 9, v2
	v_ashrrev_i32_e32 v3, 31, v2
	s_mov_b64 s[16:17], 0x200
	v_lshlrev_b32_e32 v61, 7, v48
	s_lshr_b32 s4, s58, 27
	v_lshl_add_u64 v[40:41], v[2:3], 0, s[16:17]
	v_add_u32_e32 v2, 0xffffff80, v61
	v_accvgpr_write_b32 a0, v22
	s_add_i32 s4, s58, s4
	v_cmp_eq_u32_e32 vcc, 64, v1
	v_mov_b32_e32 v51, 0
	v_ashrrev_i32_e32 v3, 31, v2
	s_mov_b64 s[16:17], 0x80
	v_mov_b64_e32 v[44:45], 0
	s_waitcnt lgkmcnt(0)
	v_accvgpr_write_b32 a6, v58
	v_accvgpr_write_b32 a1, v23
	s_ashr_i32 s59, s4, 5
	v_cmp_ge_i32_e64 s[4:5], v0, v1
	v_ashrrev_i32_e32 v37, 31, v60
	v_cmp_ne_u32_e64 s[6:7], 64, v1
	v_mov_b32_e32 v36, v21
	v_cmp_ne_u32_sdwa s[28:29], v21, v1 src0_sel:WORD_0 src1_sel:DWORD
	v_mov_b32_e32 v23, v31
	v_mov_b32_e32 v49, v51
	v_lshl_add_u64 v[42:43], v[2:3], 0, s[16:17]
	s_mov_b64 s[30:31], 0
	v_cmp_eq_u64_e64 s[16:17], 0, v[58:59]
	s_movk_i32 s60, 0x270e
	s_movk_i32 s61, 0x108
	v_mov_b32_e32 v22, 1
	s_xor_b64 s[34:35], vcc, -1
	s_mov_b32 s62, 0x7f800000
	s_movk_i32 s63, 0x7fff
	s_mov_b32 s64, 0xffff0000
	v_mov_b64_e32 v[32:33], v[44:45]
	v_accvgpr_write_b32 a7, v59
	v_accvgpr_write_b32 a9, v61
	s_trap 2
	s_branch .LBB2_49
.LBB2_47:                               ;   in Loop: Header=BB2_49 Depth=1
	s_or_b64 exec, exec, s[18:19]
.LBB2_48:                               ;   in Loop: Header=BB2_49 Depth=1
	s_or_b64 exec, exec, s[38:39]
	v_lshl_add_u64 v[44:45], v[44:45], 0, v[34:35]
	v_cmp_ge_u64_e32 vcc, v[44:45], v[4:5]
	s_or_b64 s[30:31], vcc, s[30:31]
	s_andn2_b64 exec, exec, s[30:31]
	s_cbranch_execz .LBB2_301
.LBB2_49:                               ; =>This Loop Header: Depth=1
                                        ;     Child Loop BB2_58 Depth 2
                                        ;     Child Loop BB2_84 Depth 2
	;; [unrolled: 1-line block ×10, first 2 shown]
	v_sub_co_u32_e32 v2, vcc, v4, v44
	s_nop 1
	v_subb_co_u32_e32 v3, vcc, v5, v45, vcc
	v_cmp_lt_u64_e32 vcc, v[34:35], v[2:3]
	s_nop 1
	v_cndmask_b32_e64 v47, v3, 0, vcc
	v_cndmask_b32_e32 v46, v2, v34, vcc
	v_add_u32_e32 v2, 15, v46
	v_cmp_eq_u64_e32 vcc, 0, v[46:47]
	v_and_b32_e32 v2, 0x3ffffff0, v2
	s_or_b64 s[36:37], s[4:5], vcc
	v_max_i32_e32 v52, s59, v2
	s_xor_b64 s[18:19], s[36:37], -1
	v_mov_b32_e32 v2, 0
	s_and_saveexec_b64 s[38:39], s[18:19]
	s_cbranch_execz .LBB2_251
; %bb.50:                               ;   in Loop: Header=BB2_49 Depth=1
	s_and_saveexec_b64 s[18:19], s[0:1]
	s_cbranch_execz .LBB2_52
; %bb.51:                               ;   in Loop: Header=BB2_49 Depth=1
	s_trap 2
	ds_read_b64 v[2:3], v0
	v_mov_b32_e32 v50, v51
	s_waitcnt lgkmcnt(0)
	v_lshl_add_u64 v[2:3], v[18:19], 1, v[2:3]
	v_lshl_add_u64 v[2:3], v[44:45], 1, v[2:3]
	ds_write_b64 v0, v[2:3]
	ds_write_b64 v0, v[50:51]
.LBB2_52:                               ;   in Loop: Header=BB2_49 Depth=1
	s_or_b64 exec, exec, s[18:19]
	v_and_b32_e32 v2, 12, v62
	v_cmp_ne_u32_e32 vcc, 0, v2
	s_mov_b64 s[40:41], -1
	v_lshl_add_u64 v[10:11], v[8:9], 0, 1
	s_and_saveexec_b64 s[18:19], vcc
	s_cbranch_execz .LBB2_64
; %bb.53:                               ;   in Loop: Header=BB2_49 Depth=1
	v_and_b32_e32 v50, 8, v62
	v_lshl_add_u64 v[2:3], v[28:29], 0, v[50:51]
	v_lshl_add_u64 v[12:13], v[8:9], 0, 1
	v_cmp_lt_u64_e32 vcc, v[2:3], v[12:13]
	v_mov_b32_e32 v2, 1
	s_and_saveexec_b64 s[40:41], vcc
	s_cbranch_execz .LBB2_63
; %bb.54:                               ;   in Loop: Header=BB2_49 Depth=1
	s_mov_b64 s[42:43], 0
	v_mov_b32_e32 v2, 0
                                        ; implicit-def: $sgpr44_sgpr45
	s_branch .LBB2_58
.LBB2_55:                               ;   in Loop: Header=BB2_58 Depth=2
	s_or_b64 exec, exec, s[52:53]
	v_mov_b32_e32 v3, 0
	s_orn2_b64 s[50:51], s[50:51], exec
.LBB2_56:                               ;   in Loop: Header=BB2_58 Depth=2
	s_or_b64 exec, exec, s[48:49]
	s_andn2_b64 vcc, s[44:45], exec
	s_and_b64 s[44:45], s[50:51], exec
	s_or_b64 s[44:45], vcc, s[44:45]
	v_mov_b32_e32 v2, v3
.LBB2_57:                               ;   in Loop: Header=BB2_58 Depth=2
	s_or_b64 exec, exec, s[46:47]
	s_waitcnt vmcnt(0) lgkmcnt(0)
	v_lshl_add_u64 v[14:15], v[28:29], 0, v[50:51]
	v_cmp_ge_u64_e32 vcc, v[14:15], v[12:13]
	s_xor_b64 s[46:47], s[44:45], -1
	s_or_b64 vcc, s[46:47], vcc
	s_and_b64 vcc, exec, vcc
	s_or_b64 s[42:43], vcc, s[42:43]
	s_andn2_b64 exec, exec, s[42:43]
	s_cbranch_execz .LBB2_62
.LBB2_58:                               ;   Parent Loop BB2_49 Depth=1
                                        ; =>  This Inner Loop Header: Depth=2
	s_sleep 1
	flat_load_dwordx2 v[28:29], v[24:25] sc0 sc1
	v_and_b32_e32 v3, 64, v62
	v_cmp_eq_u32_e32 vcc, 0, v3
	s_andn2_b64 s[44:45], s[44:45], exec
	s_and_saveexec_b64 s[46:47], vcc
	s_cbranch_execz .LBB2_57
; %bb.59:                               ;   in Loop: Header=BB2_58 Depth=2
	v_add_u32_e32 v3, 1, v2
	v_cmp_lt_i32_e32 vcc, s60, v2
	s_mov_b64 s[50:51], -1
	s_and_saveexec_b64 s[48:49], vcc
	s_cbranch_execz .LBB2_56
; %bb.60:                               ;   in Loop: Header=BB2_58 Depth=2
	s_trap 2
	ds_read_b64 v[2:3], v0
	s_waitcnt vmcnt(0) lgkmcnt(0)
	flat_load_dword v2, v[2:3] sc0 sc1
	s_waitcnt vmcnt(0) lgkmcnt(0)
	buffer_inv sc0 sc1
	v_cmp_ne_u32_e32 vcc, 0, v2
	s_and_saveexec_b64 s[52:53], vcc
	s_cbranch_execz .LBB2_55
; %bb.61:                               ;   in Loop: Header=BB2_58 Depth=2
	v_or_b32_e32 v62, 64, v62
	s_xor_b64 s[50:51], exec, -1
	ds_write_b32 v0, v2
	s_trap 2
	s_branch .LBB2_55
.LBB2_62:                               ;   in Loop: Header=BB2_49 Depth=1
	s_or_b64 exec, exec, s[42:43]
	v_and_b32_e32 v2, 12, v62
.LBB2_63:                               ;   in Loop: Header=BB2_49 Depth=1
	s_or_b64 exec, exec, s[40:41]
	v_cmp_eq_u32_e32 vcc, 0, v2
	s_orn2_b64 s[40:41], vcc, exec
	;;#ASMSTART
	s_wakeup
	;;#ASMEND
.LBB2_64:                               ;   in Loop: Header=BB2_49 Depth=1
	s_or_b64 exec, exec, s[18:19]
	s_xor_b64 s[18:19], s[40:41], -1
	v_min_u32_e32 v52, v52, v46
	s_and_saveexec_b64 s[40:41], s[18:19]
	s_cbranch_execz .LBB2_76
; %bb.65:                               ;   in Loop: Header=BB2_49 Depth=1
	v_and_b32_e32 v2, 0x108, v62
	v_cmp_ne_u32_e32 vcc, s61, v2
	v_and_b32_e32 v8, 7, v8
	s_and_saveexec_b64 s[18:19], vcc
	s_xor_b64 s[18:19], exec, s[18:19]
	s_andn2_saveexec_b64 s[18:19], s[18:19]
	s_cbranch_execz .LBB2_67
; %bb.66:                               ;   in Loop: Header=BB2_49 Depth=1
	v_mad_u64_u32 v[2:3], vcc, v8, 24, v[6:7]
	v_lshlrev_b32_e32 v12, 1, v52
	v_mov_b32_e32 v13, v51
	flat_store_dwordx2 v[2:3], v[12:13] offset:8
.LBB2_67:                               ;   in Loop: Header=BB2_49 Depth=1
	s_or_b64 exec, exec, s[18:19]
	v_and_b32_e32 v2, 0x100, v62
	v_cmp_ne_u32_e32 vcc, 0, v2
	s_mov_b64 s[18:19], -1
                                        ; implicit-def: $vgpr12_vgpr13
	s_and_saveexec_b64 s[42:43], vcc
	s_cbranch_execz .LBB2_71
; %bb.68:                               ;   in Loop: Header=BB2_49 Depth=1
	v_mad_u64_u32 v[14:15], s[18:19], v8, 24, v[6:7]
	v_mov_b32_e32 v2, v15
	v_mad_u64_u32 v[2:3], s[18:19], v51, 24, v[2:3]
	v_mov_b32_e32 v15, v2
	flat_load_dword v2, v[14:15]
                                        ; implicit-def: $vgpr12_vgpr13
	s_waitcnt vmcnt(0) lgkmcnt(0)
	v_cmp_ne_u32_e32 vcc, 1, v2
	v_cmp_eq_u32_e64 s[18:19], 1, v2
	s_and_saveexec_b64 s[44:45], s[18:19]
	s_cbranch_execz .LBB2_70
; %bb.69:                               ;   in Loop: Header=BB2_49 Depth=1
	flat_load_dword v2, v[14:15] offset:4 sc0 sc1
	s_waitcnt vmcnt(0) lgkmcnt(0)
	v_ashrrev_i32_e32 v3, 31, v2
	v_lshrrev_b64 v[12:13], 1, v[2:3]
.LBB2_70:                               ;   in Loop: Header=BB2_49 Depth=1
	s_or_b64 exec, exec, s[44:45]
	s_orn2_b64 s[18:19], vcc, exec
.LBB2_71:                               ;   in Loop: Header=BB2_49 Depth=1
	s_or_b64 exec, exec, s[42:43]
	s_and_saveexec_b64 vcc, s[18:19]
; %bb.72:                               ;   in Loop: Header=BB2_49 Depth=1
	v_mul_lo_u32 v2, v51, v60
	v_mul_lo_u32 v3, v8, v37
	v_mad_u64_u32 v[12:13], s[18:19], v8, v60, 0
	v_add3_u32 v13, v13, v3, v2
; %bb.73:                               ;   in Loop: Header=BB2_49 Depth=1
	s_or_b64 exec, exec, vcc
	v_lshl_add_u64 v[2:3], v[12:13], 1, v[26:27]
	s_trap 2
	ds_write_b64 v0, v[2:3]
	v_and_b32_e32 v2, 0x2000, v62
	v_cmp_ne_u32_e32 vcc, 0, v2
	s_and_saveexec_b64 s[18:19], vcc
	s_cbranch_execz .LBB2_75
; %bb.74:                               ;   in Loop: Header=BB2_49 Depth=1
	ds_read_b64 v[2:3], v0 offset:584
	s_waitcnt lgkmcnt(0)
	v_lshl_add_u64 v[2:3], v[2:3], 0, 1
	ds_write_b64 v0, v[2:3] offset:584
.LBB2_75:                               ;   in Loop: Header=BB2_49 Depth=1
	s_or_b64 exec, exec, s[18:19]
	v_mov_b64_e32 v[8:9], v[10:11]
.LBB2_76:                               ;   in Loop: Header=BB2_49 Depth=1
	s_or_b64 exec, exec, s[40:41]
	s_and_saveexec_b64 s[18:19], s[6:7]
	s_cbranch_execz .LBB2_95
; %bb.77:                               ;   in Loop: Header=BB2_49 Depth=1
	s_and_saveexec_b64 vcc, s[28:29]
	s_xor_b64 s[40:41], exec, vcc
	s_cbranch_execz .LBB2_92
; %bb.78:                               ;   in Loop: Header=BB2_49 Depth=1
	s_and_saveexec_b64 s[42:43], s[10:11]
	s_cbranch_execz .LBB2_91
; %bb.79:                               ;   in Loop: Header=BB2_49 Depth=1
	s_mov_b64 s[46:47], exec
	v_mbcnt_lo_u32_b32 v2, s46, 0
	v_mbcnt_hi_u32_b32 v2, s47, v2
	v_cmp_eq_u32_e32 vcc, 0, v2
	s_waitcnt lgkmcnt(0)
	s_and_saveexec_b64 s[44:45], vcc
	s_cbranch_execz .LBB2_81
; %bb.80:                               ;   in Loop: Header=BB2_49 Depth=1
	s_bcnt1_i32_b64 vcc_lo, s[46:47]
	v_mov_b32_e32 v50, vcc_lo
	ds_add_u64 v0, v[50:51]
	s_trap 2
.LBB2_81:                               ;   in Loop: Header=BB2_49 Depth=1
	s_or_b64 exec, exec, s[44:45]
	s_trap 2
	ds_read_b64 v[2:3], v0
	v_lshl_add_u64 v[32:33], v[32:33], 0, v[48:49]
	s_waitcnt lgkmcnt(0)
	v_cmp_lt_u64_e32 vcc, v[2:3], v[32:33]
	s_and_saveexec_b64 s[44:45], vcc
	s_cbranch_execz .LBB2_90
; %bb.82:                               ;   in Loop: Header=BB2_49 Depth=1
	s_mov_b32 s56, 0
	s_mov_b64 s[46:47], 0
                                        ; implicit-def: $sgpr48_sgpr49
                                        ; implicit-def: $sgpr50_sgpr51
	s_branch .LBB2_84
.LBB2_83:                               ;   in Loop: Header=BB2_84 Depth=2
	s_or_b64 exec, exec, s[54:55]
	s_and_b64 vcc, exec, vcc
	s_or_b64 s[46:47], vcc, s[46:47]
	s_andn2_b64 vcc, s[48:49], exec
	s_and_b64 s[48:49], s[50:51], exec
	s_or_b64 s[48:49], vcc, s[48:49]
	s_andn2_b64 exec, exec, s[46:47]
	s_cbranch_execz .LBB2_88
.LBB2_84:                               ;   Parent Loop BB2_49 Depth=1
                                        ; =>  This Inner Loop Header: Depth=2
	s_add_i32 s56, s56, 1
	s_cmpk_lg_i32 s56, 0x2710
	s_cselect_b64 s[52:53], -1, 0
	s_and_b64 vcc, exec, s[52:53]
                                        ; implicit-def: $sgpr54_sgpr55
	s_cbranch_vccnz .LBB2_86
; %bb.85:                               ;   in Loop: Header=BB2_84 Depth=2
	s_trap 2
	ds_read_b64 v[2:3], v0
	s_andn2_b64 s[52:53], s[52:53], exec
	s_mov_b32 s56, 0
	s_mov_b64 s[54:55], -1
	s_waitcnt vmcnt(0) lgkmcnt(0)
	flat_load_dword v2, v[2:3] sc0 sc1
	s_waitcnt vmcnt(0) lgkmcnt(0)
	buffer_inv sc0 sc1
	v_cmp_eq_u32_e32 vcc, 0, v2
	s_and_b64 vcc, vcc, exec
	s_or_b64 s[52:53], s[52:53], vcc
.LBB2_86:                               ;   in Loop: Header=BB2_84 Depth=2
	s_andn2_b64 s[50:51], s[50:51], exec
	s_and_b64 s[54:55], s[54:55], exec
	s_mov_b64 vcc, -1
	s_or_b64 s[50:51], s[50:51], s[54:55]
	s_and_saveexec_b64 s[54:55], s[52:53]
	s_cbranch_execz .LBB2_83
; %bb.87:                               ;   in Loop: Header=BB2_84 Depth=2
	s_sleep 1
	s_trap 2
	ds_read_b64 v[2:3], v0
	s_andn2_b64 s[50:51], s[50:51], exec
	s_waitcnt lgkmcnt(0)
	v_cmp_ge_u64_e32 vcc, v[2:3], v[32:33]
	s_orn2_b64 vcc, vcc, exec
	s_branch .LBB2_83
.LBB2_88:                               ;   in Loop: Header=BB2_49 Depth=1
	s_or_b64 exec, exec, s[46:47]
	s_and_saveexec_b64 vcc, s[48:49]
	s_xor_b64 vcc, exec, vcc
	s_cbranch_execz .LBB2_90
; %bb.89:                               ;   in Loop: Header=BB2_49 Depth=1
	ds_write_b32 v0, v22
	s_trap 2
.LBB2_90:                               ;   in Loop: Header=BB2_49 Depth=1
	s_or_b64 exec, exec, s[44:45]
	;;#ASMSTART
	s_wakeup
	;;#ASMEND
.LBB2_91:                               ;   in Loop: Header=BB2_49 Depth=1
	s_or_b64 exec, exec, s[42:43]
.LBB2_92:                               ;   in Loop: Header=BB2_49 Depth=1
	s_andn2_saveexec_b64 vcc, s[40:41]
	s_cbranch_execz .LBB2_94
; %bb.93:                               ;   in Loop: Header=BB2_49 Depth=1
	s_waitcnt lgkmcnt(0)
	s_barrier
.LBB2_94:                               ;   in Loop: Header=BB2_49 Depth=1
	s_or_b64 exec, exec, vcc
.LBB2_95:                               ;   in Loop: Header=BB2_49 Depth=1
	s_or_b64 exec, exec, s[18:19]
	s_trap 2
	ds_read_b32 v2, v0
	v_and_b32_e32 v3, 0x4000, v62
	v_cmp_ne_u32_e32 vcc, 0, v3
	s_and_b64 vcc, s[34:35], vcc
	s_and_saveexec_b64 s[18:19], vcc
	s_cbranch_execz .LBB2_114
; %bb.96:                               ;   in Loop: Header=BB2_49 Depth=1
	s_and_saveexec_b64 vcc, s[28:29]
	s_xor_b64 s[40:41], exec, vcc
	s_cbranch_execz .LBB2_111
; %bb.97:                               ;   in Loop: Header=BB2_49 Depth=1
	s_and_saveexec_b64 s[42:43], s[10:11]
	s_cbranch_execz .LBB2_110
; %bb.98:                               ;   in Loop: Header=BB2_49 Depth=1
	s_mov_b64 s[46:47], exec
	v_mbcnt_lo_u32_b32 v3, s46, 0
	v_mbcnt_hi_u32_b32 v3, s47, v3
	v_cmp_eq_u32_e32 vcc, 0, v3
	s_waitcnt lgkmcnt(0)
	s_and_saveexec_b64 s[44:45], vcc
	s_cbranch_execz .LBB2_100
; %bb.99:                               ;   in Loop: Header=BB2_49 Depth=1
	s_bcnt1_i32_b64 vcc_lo, s[46:47]
	v_mov_b32_e32 v50, vcc_lo
	ds_add_u64 v0, v[50:51]
	s_trap 2
.LBB2_100:                              ;   in Loop: Header=BB2_49 Depth=1
	s_or_b64 exec, exec, s[44:45]
	s_trap 2
	ds_read_b64 v[10:11], v0
	v_lshl_add_u64 v[32:33], v[32:33], 0, v[48:49]
	s_waitcnt lgkmcnt(0)
	v_cmp_lt_u64_e32 vcc, v[10:11], v[32:33]
	s_and_saveexec_b64 s[44:45], vcc
	s_cbranch_execz .LBB2_109
; %bb.101:                              ;   in Loop: Header=BB2_49 Depth=1
	s_mov_b32 s56, 0
	s_mov_b64 s[46:47], 0
                                        ; implicit-def: $sgpr48_sgpr49
                                        ; implicit-def: $sgpr50_sgpr51
	s_branch .LBB2_103
.LBB2_102:                              ;   in Loop: Header=BB2_103 Depth=2
	s_or_b64 exec, exec, s[54:55]
	s_and_b64 vcc, exec, vcc
	s_or_b64 s[46:47], vcc, s[46:47]
	s_andn2_b64 vcc, s[48:49], exec
	s_and_b64 s[48:49], s[50:51], exec
	s_or_b64 s[48:49], vcc, s[48:49]
	s_andn2_b64 exec, exec, s[46:47]
	s_cbranch_execz .LBB2_107
.LBB2_103:                              ;   Parent Loop BB2_49 Depth=1
                                        ; =>  This Inner Loop Header: Depth=2
	s_add_i32 s56, s56, 1
	s_cmpk_lg_i32 s56, 0x2710
	s_cselect_b64 s[52:53], -1, 0
	s_and_b64 vcc, exec, s[52:53]
                                        ; implicit-def: $sgpr54_sgpr55
	s_cbranch_vccnz .LBB2_105
; %bb.104:                              ;   in Loop: Header=BB2_103 Depth=2
	s_trap 2
	ds_read_b64 v[10:11], v0
	s_andn2_b64 s[52:53], s[52:53], exec
	s_mov_b32 s56, 0
	s_mov_b64 s[54:55], -1
	s_waitcnt vmcnt(0) lgkmcnt(0)
	flat_load_dword v3, v[10:11] sc0 sc1
	s_waitcnt vmcnt(0) lgkmcnt(0)
	buffer_inv sc0 sc1
	v_cmp_eq_u32_e32 vcc, 0, v3
	s_and_b64 vcc, vcc, exec
	s_or_b64 s[52:53], s[52:53], vcc
.LBB2_105:                              ;   in Loop: Header=BB2_103 Depth=2
	s_andn2_b64 s[50:51], s[50:51], exec
	s_and_b64 s[54:55], s[54:55], exec
	s_mov_b64 vcc, -1
	s_or_b64 s[50:51], s[50:51], s[54:55]
	s_and_saveexec_b64 s[54:55], s[52:53]
	s_cbranch_execz .LBB2_102
; %bb.106:                              ;   in Loop: Header=BB2_103 Depth=2
	s_sleep 1
	s_trap 2
	ds_read_b64 v[10:11], v0
	s_andn2_b64 s[50:51], s[50:51], exec
	s_waitcnt lgkmcnt(0)
	v_cmp_ge_u64_e32 vcc, v[10:11], v[32:33]
	s_orn2_b64 vcc, vcc, exec
	s_branch .LBB2_102
.LBB2_107:                              ;   in Loop: Header=BB2_49 Depth=1
	s_or_b64 exec, exec, s[46:47]
	s_and_saveexec_b64 vcc, s[48:49]
	s_xor_b64 vcc, exec, vcc
	s_cbranch_execz .LBB2_109
; %bb.108:                              ;   in Loop: Header=BB2_49 Depth=1
	ds_write_b32 v0, v22
	s_trap 2
.LBB2_109:                              ;   in Loop: Header=BB2_49 Depth=1
	s_or_b64 exec, exec, s[44:45]
	;;#ASMSTART
	s_wakeup
	;;#ASMEND
.LBB2_110:                              ;   in Loop: Header=BB2_49 Depth=1
	s_or_b64 exec, exec, s[42:43]
.LBB2_111:                              ;   in Loop: Header=BB2_49 Depth=1
	s_andn2_saveexec_b64 vcc, s[40:41]
	s_cbranch_execz .LBB2_113
; %bb.112:                              ;   in Loop: Header=BB2_49 Depth=1
	s_waitcnt lgkmcnt(0)
	s_barrier
.LBB2_113:                              ;   in Loop: Header=BB2_49 Depth=1
	s_or_b64 exec, exec, vcc
.LBB2_114:                              ;   in Loop: Header=BB2_49 Depth=1
	s_or_b64 exec, exec, s[18:19]
	s_trap 2
	ds_read_b64 v[10:11], v0
	s_waitcnt lgkmcnt(0)
	v_readfirstlane_b32 s18, v10
	v_readfirstlane_b32 s19, v11
	s_cmp_eq_u64 s[18:19], 0
	s_cselect_b64 s[18:19], -1, 0
	s_or_b64 vcc, s[18:19], s[18:19]
	s_mov_b64 s[18:19], 0
	s_and_b64 vcc, exec, vcc
	s_cbranch_vccnz .LBB2_225
; %bb.115:                              ;   in Loop: Header=BB2_49 Depth=1
	s_mov_b64 s[18:19], -1
	s_and_saveexec_b64 s[40:41], s[12:13]
	s_cbranch_execz .LBB2_117
; %bb.116:                              ;   in Loop: Header=BB2_49 Depth=1
	ds_read_b32 v3, v0 offset:720
	s_waitcnt lgkmcnt(0)
	v_and_b32_e32 v3, 15, v3
	v_cmp_eq_u32_e32 vcc, 0, v3
	s_orn2_b64 s[18:19], vcc, exec
.LBB2_117:                              ;   in Loop: Header=BB2_49 Depth=1
	s_or_b64 exec, exec, s[40:41]
	s_and_saveexec_b64 s[40:41], s[14:15]
	s_cbranch_execz .LBB2_119
; %bb.118:                              ;   in Loop: Header=BB2_49 Depth=1
	ds_read_b32 v3, v0 offset:784
	s_waitcnt lgkmcnt(0)
	v_and_b32_e32 v3, 15, v3
	v_cmp_eq_u32_e32 vcc, 0, v3
	s_and_b64 vcc, s[18:19], vcc
	s_andn2_b64 s[18:19], s[18:19], exec
	s_and_b64 vcc, vcc, exec
	s_or_b64 s[18:19], s[18:19], vcc
.LBB2_119:                              ;   in Loop: Header=BB2_49 Depth=1
	s_or_b64 exec, exec, s[40:41]
	v_cmp_eq_u32_e32 vcc, 0, v2
	s_xor_b64 s[18:19], s[18:19], -1
	v_cndmask_b32_e64 v2, 0, 1, s[18:19]
	v_cndmask_b32_e32 v50, 0, v52, vcc
	v_mov_b32_e32 v3, 0
	v_lshlrev_b32_e32 v53, 1, v50
	s_mov_b64 s[42:43], -1
	;;#ASMSTART
	;;#ASMEND
	s_nop 0
	v_cmp_ne_u32_e32 vcc, 0, v2
	s_cbranch_vccz .LBB2_121
; %bb.120:                              ;   in Loop: Header=BB2_49 Depth=1
	v_mov_b32_e32 v20, v0
	s_and_saveexec_b64 s[18:19], s[42:43]
	s_cbranch_execnz .LBB2_196
	s_branch .LBB2_224
.LBB2_121:                              ;   in Loop: Header=BB2_49 Depth=1
	v_accvgpr_read_b32 v2, a10
	v_accvgpr_read_b32 v3, a11
	v_lshrrev_b32_e32 v3, 9, v50
	v_lshlrev_b32_e32 v30, 10, v3
	v_sub_u32_e32 v47, v53, v2
	v_sub_u32_e32 v2, v53, v30
	v_cmp_lt_i32_e32 vcc, 15, v2
	v_accvgpr_read_b32 v10, a8
	s_nop 0
	v_addc_co_u32_e64 v31, s[18:19], v3, v10, vcc
	v_cmp_lt_i32_e64 s[18:19], 15, v47
	s_and_saveexec_b64 s[40:41], s[18:19]
	s_cbranch_execz .LBB2_157
; %bb.122:                              ;   in Loop: Header=BB2_49 Depth=1
	s_trap 2
	ds_read_b128 v[10:13], v0
	ds_read_b64 v[14:15], v0
	v_accvgpr_read_b32 v17, a11
	v_accvgpr_read_b32 v16, a10
	v_accvgpr_write_b32 a4, v60
	s_waitcnt lgkmcnt(0)
	v_lshl_add_u64 v[56:57], v[10:11], 0, v[16:17]
	v_lshl_add_u64 v[58:59], v[12:13], 0, v[16:17]
	;; [unrolled: 1-line block ×3, first 2 shown]
	s_mov_b64 s[42:43], 0
	s_branch .LBB2_124
.LBB2_123:                              ;   in Loop: Header=BB2_124 Depth=2
	s_or_b64 exec, exec, s[44:45]
	v_lshrrev_b32_e32 v10, 16, v20
	v_lshrrev_b32_e32 v13, 16, v21
	v_and_or_b32 v11, v15, s64, v10
	v_lshrrev_b32_e32 v10, 16, v39
	v_and_or_b32 v12, v12, s64, v13
	v_lshrrev_b32_e32 v13, 16, v16
	v_sub_u32_e32 v47, v47, v38
	v_and_or_b32 v10, v14, s64, v10
	v_and_or_b32 v13, v3, s64, v13
	v_cmp_gt_i32_e64 s[18:19], 16, v47
	global_store_dwordx4 v[60:61], v[10:13], off nt
	v_lshl_add_u64 v[56:57], v[56:57], 0, v[54:55]
	v_lshl_add_u64 v[58:59], v[58:59], 0, v[54:55]
	v_lshl_add_u64 v[60:61], v[60:61], 0, v[54:55]
	s_or_b64 s[42:43], s[18:19], s[42:43]
	v_sub_u32_e32 v31, v31, v48
	s_andn2_b64 exec, exec, s[42:43]
	s_cbranch_execz .LBB2_156
.LBB2_124:                              ;   Parent Loop BB2_49 Depth=1
                                        ; =>  This Inner Loop Header: Depth=2
	global_load_dwordx4 v[10:13], v[58:59], off nt
	global_load_dwordx4 v[14:17], v[56:57], off nt
                                        ; implicit-def: $vgpr39
	s_waitcnt vmcnt(0)
	v_lshlrev_b32_e32 v20, 16, v10
	v_lshlrev_b32_e32 v22, 16, v14
	v_pk_mul_f32 v[20:21], v[20:21], v[22:23] op_sel_hi:[0,1]
	v_and_b32_e32 v3, 0x7f800000, v20
	v_cmp_ne_u32_e64 s[18:19], s62, v3
	s_and_saveexec_b64 s[44:45], s[18:19]
	s_xor_b64 s[18:19], exec, s[44:45]
; %bb.125:                              ;   in Loop: Header=BB2_124 Depth=2
	v_bfe_u32 v3, v20, 16, 1
	v_add3_u32 v39, v20, v3, s63
                                        ; implicit-def: $vgpr20_vgpr21
; %bb.126:                              ;   in Loop: Header=BB2_124 Depth=2
	s_andn2_saveexec_b64 s[44:45], s[18:19]
; %bb.127:                              ;   in Loop: Header=BB2_124 Depth=2
	v_or_b32_e32 v3, 0x10000, v20
	v_cmp_eq_u32_sdwa s[18:19], v20, v51 src0_sel:WORD_0 src1_sel:DWORD
	s_nop 1
	v_cndmask_b32_e64 v39, v3, v20, s[18:19]
; %bb.128:                              ;   in Loop: Header=BB2_124 Depth=2
	s_or_b64 exec, exec, s[44:45]
	v_and_b32_e32 v10, 0xffff0000, v10
	v_and_b32_e32 v14, 0xffff0000, v14
	v_pk_mul_f32 v[20:21], v[10:11], v[14:15] op_sel_hi:[0,1]
	v_and_b32_e32 v3, 0x7f800000, v20
	v_cmp_ne_u32_e64 s[18:19], s62, v3
                                        ; implicit-def: $vgpr14
	s_and_saveexec_b64 s[44:45], s[18:19]
	s_xor_b64 s[18:19], exec, s[44:45]
; %bb.129:                              ;   in Loop: Header=BB2_124 Depth=2
	v_bfe_u32 v3, v20, 16, 1
	v_add3_u32 v14, v20, v3, s63
                                        ; implicit-def: $vgpr20_vgpr21
; %bb.130:                              ;   in Loop: Header=BB2_124 Depth=2
	s_andn2_saveexec_b64 s[44:45], s[18:19]
; %bb.131:                              ;   in Loop: Header=BB2_124 Depth=2
	v_or_b32_e32 v3, 0x10000, v20
	v_cmp_eq_u32_sdwa s[18:19], v20, v51 src0_sel:WORD_0 src1_sel:DWORD
	s_nop 1
	v_cndmask_b32_e64 v14, v3, v20, s[18:19]
; %bb.132:                              ;   in Loop: Header=BB2_124 Depth=2
	s_or_b64 exec, exec, s[44:45]
	v_mov_b32_e32 v3, v11
	v_lshlrev_b32_e32 v10, 16, v3
	v_lshlrev_b32_e32 v20, 16, v15
	v_pk_mul_f32 v[10:11], v[10:11], v[20:21] op_sel_hi:[0,1]
	v_and_b32_e32 v11, 0x7f800000, v10
	v_cmp_ne_u32_e64 s[18:19], s62, v11
                                        ; implicit-def: $vgpr20
	s_and_saveexec_b64 s[44:45], s[18:19]
	s_xor_b64 s[18:19], exec, s[44:45]
; %bb.133:                              ;   in Loop: Header=BB2_124 Depth=2
	v_bfe_u32 v11, v10, 16, 1
	v_add3_u32 v20, v10, v11, s63
                                        ; implicit-def: $vgpr10_vgpr11
; %bb.134:                              ;   in Loop: Header=BB2_124 Depth=2
	s_andn2_saveexec_b64 s[44:45], s[18:19]
; %bb.135:                              ;   in Loop: Header=BB2_124 Depth=2
	v_or_b32_e32 v11, 0x10000, v10
	v_cmp_eq_u32_sdwa s[18:19], v10, v51 src0_sel:WORD_0 src1_sel:DWORD
	s_nop 1
	v_cndmask_b32_e64 v20, v11, v10, s[18:19]
; %bb.136:                              ;   in Loop: Header=BB2_124 Depth=2
	s_or_b64 exec, exec, s[44:45]
	v_and_b32_e32 v10, 0xffff0000, v3
	v_and_b32_e32 v22, 0xffff0000, v15
	v_pk_mul_f32 v[10:11], v[10:11], v[22:23] op_sel_hi:[0,1]
	v_and_b32_e32 v3, 0x7f800000, v10
	v_cmp_ne_u32_e64 s[18:19], s62, v3
                                        ; implicit-def: $vgpr15
	s_and_saveexec_b64 s[44:45], s[18:19]
	s_xor_b64 s[18:19], exec, s[44:45]
; %bb.137:                              ;   in Loop: Header=BB2_124 Depth=2
	v_bfe_u32 v3, v10, 16, 1
	v_add3_u32 v15, v10, v3, s63
                                        ; implicit-def: $vgpr10_vgpr11
; %bb.138:                              ;   in Loop: Header=BB2_124 Depth=2
	s_andn2_saveexec_b64 s[44:45], s[18:19]
; %bb.139:                              ;   in Loop: Header=BB2_124 Depth=2
	v_or_b32_e32 v3, 0x10000, v10
	v_cmp_eq_u32_sdwa s[18:19], v10, v51 src0_sel:WORD_0 src1_sel:DWORD
	s_nop 1
	v_cndmask_b32_e64 v15, v3, v10, s[18:19]
; %bb.140:                              ;   in Loop: Header=BB2_124 Depth=2
	s_or_b64 exec, exec, s[44:45]
	v_lshlrev_b32_e32 v10, 16, v12
	v_lshlrev_b32_e32 v22, 16, v16
	v_pk_mul_f32 v[10:11], v[10:11], v[22:23] op_sel_hi:[0,1]
	v_and_b32_e32 v3, 0x7f800000, v10
	v_cmp_ne_u32_e64 s[18:19], s62, v3
                                        ; implicit-def: $vgpr21
	s_and_saveexec_b64 s[44:45], s[18:19]
	s_xor_b64 s[18:19], exec, s[44:45]
; %bb.141:                              ;   in Loop: Header=BB2_124 Depth=2
	v_bfe_u32 v3, v10, 16, 1
	v_add3_u32 v21, v10, v3, s63
                                        ; implicit-def: $vgpr10_vgpr11
; %bb.142:                              ;   in Loop: Header=BB2_124 Depth=2
	s_andn2_saveexec_b64 s[44:45], s[18:19]
; %bb.143:                              ;   in Loop: Header=BB2_124 Depth=2
	v_or_b32_e32 v3, 0x10000, v10
	v_cmp_eq_u32_sdwa s[18:19], v10, v51 src0_sel:WORD_0 src1_sel:DWORD
	s_nop 1
	v_cndmask_b32_e64 v21, v3, v10, s[18:19]
; %bb.144:                              ;   in Loop: Header=BB2_124 Depth=2
	s_or_b64 exec, exec, s[44:45]
	v_and_b32_e32 v10, 0xffff0000, v12
	v_and_b32_e32 v12, 0xffff0000, v16
	v_pk_mul_f32 v[10:11], v[10:11], v[12:13] op_sel_hi:[0,1]
	v_and_b32_e32 v3, 0x7f800000, v10
	v_cmp_ne_u32_e64 s[18:19], s62, v3
                                        ; implicit-def: $vgpr12
	s_and_saveexec_b64 s[44:45], s[18:19]
	s_xor_b64 s[18:19], exec, s[44:45]
; %bb.145:                              ;   in Loop: Header=BB2_124 Depth=2
	v_bfe_u32 v3, v10, 16, 1
	v_add3_u32 v12, v10, v3, s63
                                        ; implicit-def: $vgpr10_vgpr11
; %bb.146:                              ;   in Loop: Header=BB2_124 Depth=2
	s_andn2_saveexec_b64 s[44:45], s[18:19]
; %bb.147:                              ;   in Loop: Header=BB2_124 Depth=2
	v_or_b32_e32 v3, 0x10000, v10
	v_cmp_eq_u32_sdwa s[18:19], v10, v51 src0_sel:WORD_0 src1_sel:DWORD
	s_nop 1
	v_cndmask_b32_e64 v12, v3, v10, s[18:19]
; %bb.148:                              ;   in Loop: Header=BB2_124 Depth=2
	s_or_b64 exec, exec, s[44:45]
	v_mov_b32_e32 v3, v17
	v_lshlrev_b32_e32 v10, 16, v13
	v_lshlrev_b32_e32 v16, 16, v3
	v_pk_mul_f32 v[10:11], v[10:11], v[16:17] op_sel_hi:[0,1]
	v_and_b32_e32 v11, 0x7f800000, v10
	v_cmp_ne_u32_e64 s[18:19], s62, v11
                                        ; implicit-def: $vgpr16
	s_and_saveexec_b64 s[44:45], s[18:19]
	s_xor_b64 s[18:19], exec, s[44:45]
; %bb.149:                              ;   in Loop: Header=BB2_124 Depth=2
	v_bfe_u32 v11, v10, 16, 1
	v_add3_u32 v16, v10, v11, s63
                                        ; implicit-def: $vgpr10_vgpr11
; %bb.150:                              ;   in Loop: Header=BB2_124 Depth=2
	s_andn2_saveexec_b64 s[44:45], s[18:19]
; %bb.151:                              ;   in Loop: Header=BB2_124 Depth=2
	v_or_b32_e32 v11, 0x10000, v10
	v_cmp_eq_u32_sdwa s[18:19], v10, v51 src0_sel:WORD_0 src1_sel:DWORD
	s_nop 1
	v_cndmask_b32_e64 v16, v11, v10, s[18:19]
; %bb.152:                              ;   in Loop: Header=BB2_124 Depth=2
	s_or_b64 exec, exec, s[44:45]
	v_and_b32_e32 v10, 0xffff0000, v13
	v_and_b32_e32 v22, 0xffff0000, v3
	v_pk_mul_f32 v[10:11], v[10:11], v[22:23] op_sel_hi:[0,1]
	v_and_b32_e32 v3, 0x7f800000, v10
	v_cmp_ne_u32_e64 s[18:19], s62, v3
                                        ; implicit-def: $vgpr3
	s_and_saveexec_b64 s[44:45], s[18:19]
	s_xor_b64 s[18:19], exec, s[44:45]
; %bb.153:                              ;   in Loop: Header=BB2_124 Depth=2
	v_bfe_u32 v3, v10, 16, 1
	v_add3_u32 v3, v10, v3, s63
                                        ; implicit-def: $vgpr10_vgpr11
; %bb.154:                              ;   in Loop: Header=BB2_124 Depth=2
	s_andn2_saveexec_b64 s[44:45], s[18:19]
	s_cbranch_execz .LBB2_123
; %bb.155:                              ;   in Loop: Header=BB2_124 Depth=2
	v_or_b32_e32 v3, 0x10000, v10
	v_cmp_eq_u32_sdwa s[18:19], v10, v51 src0_sel:WORD_0 src1_sel:DWORD
	s_nop 1
	v_cndmask_b32_e64 v3, v3, v10, s[18:19]
	s_branch .LBB2_123
.LBB2_156:                              ;   in Loop: Header=BB2_49 Depth=1
	s_or_b64 exec, exec, s[42:43]
	v_accvgpr_read_b32 v59, a7
	v_accvgpr_read_b32 v60, a4
	;; [unrolled: 1-line block ×4, first 2 shown]
.LBB2_157:                              ;   in Loop: Header=BB2_49 Depth=1
	s_or_b64 exec, exec, s[40:41]
	v_and_b32_e32 v10, 14, v53
	v_cndmask_b32_e32 v47, v2, v10, vcc
	v_cmp_ne_u32_e64 s[18:19], 0, v47
	s_mov_b64 s[42:43], 0
	v_mov_b32_e32 v3, 0
                                        ; implicit-def: $vgpr53
                                        ; implicit-def: $vgpr20
	s_and_saveexec_b64 s[40:41], s[18:19]
	s_cbranch_execz .LBB2_195
; %bb.158:                              ;   in Loop: Header=BB2_49 Depth=1
	v_sub_u32_e32 v2, v2, v10
	v_cndmask_b32_e32 v2, 0, v2, vcc
	v_cmp_lt_i32_e32 vcc, 0, v31
	v_add_u32_e32 v16, v2, v30
	v_accvgpr_read_b32 v3, a5
	v_cndmask_b32_e32 v2, 0, v48, vcc
	v_sub_u32_e32 v2, v2, v31
	v_lshl_add_u32 v2, v2, 6, v3
	v_ashrrev_i32_e32 v3, 31, v2
	v_lshrrev_b32_e32 v3, 26, v3
	v_add_u32_e32 v3, v2, v3
	v_ashrrev_i32_e32 v10, 6, v3
	v_and_b32_e32 v3, 0xffffffc0, v3
	v_sub_u32_e32 v12, v2, v3
	v_lshlrev_b32_e32 v2, 4, v12
	v_lshl_add_u32 v3, v10, 10, v2
	v_ashrrev_i32_e32 v2, 31, v47
	v_lshrrev_b32_e32 v2, 22, v2
	v_add_u32_e32 v2, v47, v2
	v_ashrrev_i32_e32 v11, 10, v2
	v_and_b32_e32 v2, 0xfffffc00, v2
	v_sub_u32_e32 v31, v47, v2
	v_cmp_lt_i32_e32 vcc, 15, v31
	v_sub_u32_e32 v53, v47, v3
	s_nop 0
	v_addc_co_u32_e64 v11, s[18:19], 0, v11, vcc
	v_sub_u32_e32 v30, v11, v10
	v_cmp_lt_i32_e64 s[18:19], 15, v53
	s_and_saveexec_b64 s[42:43], s[18:19]
	s_cbranch_execz .LBB2_194
; %bb.159:                              ;   in Loop: Header=BB2_49 Depth=1
	v_accvgpr_write_b32 a13, v12
	s_trap 2
	ds_read_b128 v[10:13], v0
	ds_read_b64 v[14:15], v0
	v_accvgpr_write_b32 a12, v16
	v_add_u32_e32 v16, v3, v16
	v_ashrrev_i32_e32 v17, 31, v16
	v_accvgpr_write_b32 a4, v60
	s_waitcnt lgkmcnt(0)
	v_lshl_add_u64 v[56:57], v[10:11], 0, v[16:17]
	v_lshl_add_u64 v[58:59], v[12:13], 0, v[16:17]
	;; [unrolled: 1-line block ×3, first 2 shown]
	s_mov_b64 s[44:45], 0
	s_branch .LBB2_161
.LBB2_160:                              ;   in Loop: Header=BB2_161 Depth=2
	s_or_b64 exec, exec, s[46:47]
	v_lshrrev_b32_e32 v10, 16, v20
	v_lshrrev_b32_e32 v13, 16, v21
	v_and_or_b32 v11, v15, s64, v10
	v_lshrrev_b32_e32 v10, 16, v39
	v_and_or_b32 v12, v12, s64, v13
	v_lshrrev_b32_e32 v13, 16, v16
	v_sub_u32_e32 v53, v53, v38
	v_and_or_b32 v10, v14, s64, v10
	v_and_or_b32 v13, v3, s64, v13
	v_cmp_gt_i32_e64 s[18:19], 16, v53
	global_store_dwordx4 v[60:61], v[10:13], off nt
	v_lshl_add_u64 v[56:57], v[56:57], 0, v[54:55]
	v_lshl_add_u64 v[58:59], v[58:59], 0, v[54:55]
	v_lshl_add_u64 v[60:61], v[60:61], 0, v[54:55]
	s_or_b64 s[44:45], s[18:19], s[44:45]
	v_sub_u32_e32 v30, v30, v48
	s_andn2_b64 exec, exec, s[44:45]
	s_cbranch_execz .LBB2_193
.LBB2_161:                              ;   Parent Loop BB2_49 Depth=1
                                        ; =>  This Inner Loop Header: Depth=2
	global_load_dwordx4 v[10:13], v[58:59], off nt
	global_load_dwordx4 v[14:17], v[56:57], off nt
                                        ; implicit-def: $vgpr39
	s_waitcnt vmcnt(0)
	v_lshlrev_b32_e32 v20, 16, v10
	v_lshlrev_b32_e32 v22, 16, v14
	v_pk_mul_f32 v[20:21], v[20:21], v[22:23] op_sel_hi:[0,1]
	v_and_b32_e32 v3, 0x7f800000, v20
	v_cmp_ne_u32_e64 s[18:19], s62, v3
	s_and_saveexec_b64 s[46:47], s[18:19]
	s_xor_b64 s[18:19], exec, s[46:47]
; %bb.162:                              ;   in Loop: Header=BB2_161 Depth=2
	v_bfe_u32 v3, v20, 16, 1
	v_add3_u32 v39, v20, v3, s63
                                        ; implicit-def: $vgpr20_vgpr21
; %bb.163:                              ;   in Loop: Header=BB2_161 Depth=2
	s_andn2_saveexec_b64 s[46:47], s[18:19]
; %bb.164:                              ;   in Loop: Header=BB2_161 Depth=2
	v_or_b32_e32 v3, 0x10000, v20
	v_cmp_eq_u32_sdwa s[18:19], v20, v51 src0_sel:WORD_0 src1_sel:DWORD
	s_nop 1
	v_cndmask_b32_e64 v39, v3, v20, s[18:19]
; %bb.165:                              ;   in Loop: Header=BB2_161 Depth=2
	s_or_b64 exec, exec, s[46:47]
	v_and_b32_e32 v10, 0xffff0000, v10
	v_and_b32_e32 v14, 0xffff0000, v14
	v_pk_mul_f32 v[20:21], v[10:11], v[14:15] op_sel_hi:[0,1]
	v_and_b32_e32 v3, 0x7f800000, v20
	v_cmp_ne_u32_e64 s[18:19], s62, v3
                                        ; implicit-def: $vgpr14
	s_and_saveexec_b64 s[46:47], s[18:19]
	s_xor_b64 s[18:19], exec, s[46:47]
; %bb.166:                              ;   in Loop: Header=BB2_161 Depth=2
	v_bfe_u32 v3, v20, 16, 1
	v_add3_u32 v14, v20, v3, s63
                                        ; implicit-def: $vgpr20_vgpr21
; %bb.167:                              ;   in Loop: Header=BB2_161 Depth=2
	s_andn2_saveexec_b64 s[46:47], s[18:19]
; %bb.168:                              ;   in Loop: Header=BB2_161 Depth=2
	v_or_b32_e32 v3, 0x10000, v20
	v_cmp_eq_u32_sdwa s[18:19], v20, v51 src0_sel:WORD_0 src1_sel:DWORD
	s_nop 1
	v_cndmask_b32_e64 v14, v3, v20, s[18:19]
; %bb.169:                              ;   in Loop: Header=BB2_161 Depth=2
	s_or_b64 exec, exec, s[46:47]
	v_mov_b32_e32 v3, v11
	v_lshlrev_b32_e32 v10, 16, v3
	v_lshlrev_b32_e32 v20, 16, v15
	v_pk_mul_f32 v[10:11], v[10:11], v[20:21] op_sel_hi:[0,1]
	v_and_b32_e32 v11, 0x7f800000, v10
	v_cmp_ne_u32_e64 s[18:19], s62, v11
                                        ; implicit-def: $vgpr20
	s_and_saveexec_b64 s[46:47], s[18:19]
	s_xor_b64 s[18:19], exec, s[46:47]
; %bb.170:                              ;   in Loop: Header=BB2_161 Depth=2
	v_bfe_u32 v11, v10, 16, 1
	v_add3_u32 v20, v10, v11, s63
                                        ; implicit-def: $vgpr10_vgpr11
; %bb.171:                              ;   in Loop: Header=BB2_161 Depth=2
	s_andn2_saveexec_b64 s[46:47], s[18:19]
; %bb.172:                              ;   in Loop: Header=BB2_161 Depth=2
	v_or_b32_e32 v11, 0x10000, v10
	v_cmp_eq_u32_sdwa s[18:19], v10, v51 src0_sel:WORD_0 src1_sel:DWORD
	s_nop 1
	v_cndmask_b32_e64 v20, v11, v10, s[18:19]
; %bb.173:                              ;   in Loop: Header=BB2_161 Depth=2
	s_or_b64 exec, exec, s[46:47]
	v_and_b32_e32 v10, 0xffff0000, v3
	v_and_b32_e32 v22, 0xffff0000, v15
	v_pk_mul_f32 v[10:11], v[10:11], v[22:23] op_sel_hi:[0,1]
	v_and_b32_e32 v3, 0x7f800000, v10
	v_cmp_ne_u32_e64 s[18:19], s62, v3
                                        ; implicit-def: $vgpr15
	s_and_saveexec_b64 s[46:47], s[18:19]
	s_xor_b64 s[18:19], exec, s[46:47]
; %bb.174:                              ;   in Loop: Header=BB2_161 Depth=2
	v_bfe_u32 v3, v10, 16, 1
	v_add3_u32 v15, v10, v3, s63
                                        ; implicit-def: $vgpr10_vgpr11
; %bb.175:                              ;   in Loop: Header=BB2_161 Depth=2
	s_andn2_saveexec_b64 s[46:47], s[18:19]
; %bb.176:                              ;   in Loop: Header=BB2_161 Depth=2
	v_or_b32_e32 v3, 0x10000, v10
	v_cmp_eq_u32_sdwa s[18:19], v10, v51 src0_sel:WORD_0 src1_sel:DWORD
	s_nop 1
	v_cndmask_b32_e64 v15, v3, v10, s[18:19]
; %bb.177:                              ;   in Loop: Header=BB2_161 Depth=2
	s_or_b64 exec, exec, s[46:47]
	v_lshlrev_b32_e32 v10, 16, v12
	v_lshlrev_b32_e32 v22, 16, v16
	v_pk_mul_f32 v[10:11], v[10:11], v[22:23] op_sel_hi:[0,1]
	v_and_b32_e32 v3, 0x7f800000, v10
	v_cmp_ne_u32_e64 s[18:19], s62, v3
                                        ; implicit-def: $vgpr21
	s_and_saveexec_b64 s[46:47], s[18:19]
	s_xor_b64 s[18:19], exec, s[46:47]
; %bb.178:                              ;   in Loop: Header=BB2_161 Depth=2
	v_bfe_u32 v3, v10, 16, 1
	v_add3_u32 v21, v10, v3, s63
                                        ; implicit-def: $vgpr10_vgpr11
; %bb.179:                              ;   in Loop: Header=BB2_161 Depth=2
	s_andn2_saveexec_b64 s[46:47], s[18:19]
; %bb.180:                              ;   in Loop: Header=BB2_161 Depth=2
	v_or_b32_e32 v3, 0x10000, v10
	v_cmp_eq_u32_sdwa s[18:19], v10, v51 src0_sel:WORD_0 src1_sel:DWORD
	s_nop 1
	v_cndmask_b32_e64 v21, v3, v10, s[18:19]
; %bb.181:                              ;   in Loop: Header=BB2_161 Depth=2
	s_or_b64 exec, exec, s[46:47]
	v_and_b32_e32 v10, 0xffff0000, v12
	v_and_b32_e32 v12, 0xffff0000, v16
	v_pk_mul_f32 v[10:11], v[10:11], v[12:13] op_sel_hi:[0,1]
	v_and_b32_e32 v3, 0x7f800000, v10
	v_cmp_ne_u32_e64 s[18:19], s62, v3
                                        ; implicit-def: $vgpr12
	s_and_saveexec_b64 s[46:47], s[18:19]
	s_xor_b64 s[18:19], exec, s[46:47]
; %bb.182:                              ;   in Loop: Header=BB2_161 Depth=2
	v_bfe_u32 v3, v10, 16, 1
	v_add3_u32 v12, v10, v3, s63
                                        ; implicit-def: $vgpr10_vgpr11
; %bb.183:                              ;   in Loop: Header=BB2_161 Depth=2
	s_andn2_saveexec_b64 s[46:47], s[18:19]
; %bb.184:                              ;   in Loop: Header=BB2_161 Depth=2
	v_or_b32_e32 v3, 0x10000, v10
	v_cmp_eq_u32_sdwa s[18:19], v10, v51 src0_sel:WORD_0 src1_sel:DWORD
	s_nop 1
	v_cndmask_b32_e64 v12, v3, v10, s[18:19]
; %bb.185:                              ;   in Loop: Header=BB2_161 Depth=2
	s_or_b64 exec, exec, s[46:47]
	v_mov_b32_e32 v3, v17
	v_lshlrev_b32_e32 v10, 16, v13
	v_lshlrev_b32_e32 v16, 16, v3
	v_pk_mul_f32 v[10:11], v[10:11], v[16:17] op_sel_hi:[0,1]
	v_and_b32_e32 v11, 0x7f800000, v10
	v_cmp_ne_u32_e64 s[18:19], s62, v11
                                        ; implicit-def: $vgpr16
	s_and_saveexec_b64 s[46:47], s[18:19]
	s_xor_b64 s[18:19], exec, s[46:47]
; %bb.186:                              ;   in Loop: Header=BB2_161 Depth=2
	v_bfe_u32 v11, v10, 16, 1
	v_add3_u32 v16, v10, v11, s63
                                        ; implicit-def: $vgpr10_vgpr11
; %bb.187:                              ;   in Loop: Header=BB2_161 Depth=2
	s_andn2_saveexec_b64 s[46:47], s[18:19]
; %bb.188:                              ;   in Loop: Header=BB2_161 Depth=2
	v_or_b32_e32 v11, 0x10000, v10
	v_cmp_eq_u32_sdwa s[18:19], v10, v51 src0_sel:WORD_0 src1_sel:DWORD
	s_nop 1
	v_cndmask_b32_e64 v16, v11, v10, s[18:19]
; %bb.189:                              ;   in Loop: Header=BB2_161 Depth=2
	s_or_b64 exec, exec, s[46:47]
	v_and_b32_e32 v10, 0xffff0000, v13
	v_and_b32_e32 v22, 0xffff0000, v3
	v_pk_mul_f32 v[10:11], v[10:11], v[22:23] op_sel_hi:[0,1]
	v_and_b32_e32 v3, 0x7f800000, v10
	v_cmp_ne_u32_e64 s[18:19], s62, v3
                                        ; implicit-def: $vgpr3
	s_and_saveexec_b64 s[46:47], s[18:19]
	s_xor_b64 s[18:19], exec, s[46:47]
; %bb.190:                              ;   in Loop: Header=BB2_161 Depth=2
	v_bfe_u32 v3, v10, 16, 1
	v_add3_u32 v3, v10, v3, s63
                                        ; implicit-def: $vgpr10_vgpr11
; %bb.191:                              ;   in Loop: Header=BB2_161 Depth=2
	s_andn2_saveexec_b64 s[46:47], s[18:19]
	s_cbranch_execz .LBB2_160
; %bb.192:                              ;   in Loop: Header=BB2_161 Depth=2
	v_or_b32_e32 v3, 0x10000, v10
	v_cmp_eq_u32_sdwa s[18:19], v10, v51 src0_sel:WORD_0 src1_sel:DWORD
	s_nop 1
	v_cndmask_b32_e64 v3, v3, v10, s[18:19]
	s_branch .LBB2_160
.LBB2_193:                              ;   in Loop: Header=BB2_49 Depth=1
	s_or_b64 exec, exec, s[44:45]
	v_accvgpr_read_b32 v59, a7
	v_accvgpr_read_b32 v60, a4
	;; [unrolled: 1-line block ×6, first 2 shown]
.LBB2_194:                              ;   in Loop: Header=BB2_49 Depth=1
	s_or_b64 exec, exec, s[42:43]
	v_and_b32_e32 v10, 14, v47
	v_sub_u32_e32 v3, v31, v10
	v_cndmask_b32_e32 v3, 0, v3, vcc
	v_cndmask_b32_e32 v53, v31, v10, vcc
	v_cmp_lt_i32_e32 vcc, 0, v30
	v_add3_u32 v3, v2, v16, v3
	s_nop 0
	v_cndmask_b32_e32 v2, 0, v48, vcc
	v_sub_u32_e32 v2, v2, v30
	v_cmp_ne_u32_e32 vcc, 0, v53
	v_lshl_add_u32 v20, v2, 6, v12
	s_and_b64 s[42:43], vcc, exec
.LBB2_195:                              ;   in Loop: Header=BB2_49 Depth=1
	s_or_b64 exec, exec, s[40:41]
	v_mov_b32_e32 v22, 1
	s_and_saveexec_b64 s[18:19], s[42:43]
	s_cbranch_execz .LBB2_224
.LBB2_196:                              ;   in Loop: Header=BB2_49 Depth=1
	v_ashrrev_i32_e32 v2, 31, v20
	v_ashrrev_i32_e32 v11, 31, v53
	v_lshrrev_b32_e32 v2, 26, v2
	v_lshrrev_b32_e32 v11, 23, v11
	v_add_u32_e32 v10, v20, v2
	v_add_u32_e32 v11, v53, v11
	v_ashrrev_i32_e32 v2, 6, v10
	v_ashrrev_i32_e32 v30, 9, v11
	v_sub_u32_e32 v21, v30, v2
	v_cmp_lt_i32_e32 vcc, 0, v21
	s_and_saveexec_b64 s[40:41], vcc
	s_cbranch_execz .LBB2_216
; %bb.197:                              ;   in Loop: Header=BB2_49 Depth=1
	v_and_b32_e32 v10, 0x7fffffc0, v10
	v_sub_u32_e32 v10, v20, v10
	s_trap 2
	v_lshlrev_b32_e32 v16, 1, v10
	ds_read_b128 v[10:13], v0
	ds_read_b64 v[14:15], v0
	v_lshlrev_b32_e32 v17, 9, v2
	v_add3_u32 v16, v16, v3, v17
	v_ashrrev_i32_e32 v17, 31, v16
	s_waitcnt lgkmcnt(0)
	v_lshl_add_u64 v[10:11], v[10:11], 0, v[16:17]
	v_lshl_add_u64 v[12:13], v[12:13], 0, v[16:17]
	v_lshl_add_u64 v[14:15], v[14:15], 0, v[16:17]
	s_mov_b64 s[42:43], 0
	s_branch .LBB2_199
.LBB2_198:                              ;   in Loop: Header=BB2_199 Depth=2
	s_or_b64 exec, exec, s[44:45]
	v_sub_u32_e32 v21, v21, v48
	v_cmp_gt_i32_e32 vcc, 1, v21
	flat_store_short_d16_hi v[14:15], v31 nt
	flat_store_short_d16_hi v[14:15], v56 offset:128 nt
	flat_store_short_d16_hi v[14:15], v57 offset:256 nt
	;; [unrolled: 1-line block ×3, first 2 shown]
	v_lshl_add_u64 v[10:11], v[10:11], 0, v[40:41]
	v_lshl_add_u64 v[12:13], v[12:13], 0, v[40:41]
	s_or_b64 s[42:43], vcc, s[42:43]
	v_lshl_add_u64 v[14:15], v[14:15], 0, v[40:41]
	s_andn2_b64 exec, exec, s[42:43]
	s_cbranch_execz .LBB2_215
.LBB2_199:                              ;   Parent Loop BB2_49 Depth=1
                                        ; =>  This Inner Loop Header: Depth=2
	flat_load_ushort v57, v[10:11] offset:256 nt
	flat_load_ushort v39, v[10:11] offset:384 nt
	;; [unrolled: 1-line block ×4, first 2 shown]
	flat_load_ushort v16, v[12:13] nt
	flat_load_ushort v17, v[10:11] nt
	flat_load_ushort v56, v[10:11] offset:128 nt
	flat_load_ushort v59, v[12:13] offset:128 nt
                                        ; implicit-def: $vgpr31
	s_waitcnt vmcnt(0) lgkmcnt(0)
	v_lshlrev_b32_e32 v16, 16, v16
	v_lshlrev_b32_e32 v22, 16, v17
	v_pk_mul_f32 v[16:17], v[16:17], v[22:23] op_sel_hi:[0,1]
	v_and_b32_e32 v17, 0x7f800000, v16
	v_cmp_ne_u32_e32 vcc, s62, v17
	s_and_saveexec_b64 s[44:45], vcc
	s_xor_b64 vcc, exec, s[44:45]
; %bb.200:                              ;   in Loop: Header=BB2_199 Depth=2
	v_bfe_u32 v17, v16, 16, 1
	v_add3_u32 v31, v16, v17, s63
                                        ; implicit-def: $vgpr16_vgpr17
; %bb.201:                              ;   in Loop: Header=BB2_199 Depth=2
	s_andn2_saveexec_b64 s[44:45], vcc
; %bb.202:                              ;   in Loop: Header=BB2_199 Depth=2
	v_or_b32_e32 v17, 0x10000, v16
	v_cmp_eq_u32_sdwa vcc, v16, v51 src0_sel:WORD_0 src1_sel:DWORD
	s_nop 1
	v_cndmask_b32_e32 v31, v17, v16, vcc
; %bb.203:                              ;   in Loop: Header=BB2_199 Depth=2
	s_or_b64 exec, exec, s[44:45]
	v_lshlrev_b32_e32 v16, 16, v59
	v_lshlrev_b32_e32 v22, 16, v56
	v_pk_mul_f32 v[16:17], v[16:17], v[22:23] op_sel_hi:[0,1]
	v_and_b32_e32 v17, 0x7f800000, v16
	v_cmp_ne_u32_e32 vcc, s62, v17
                                        ; implicit-def: $vgpr56
	s_and_saveexec_b64 s[44:45], vcc
	s_xor_b64 vcc, exec, s[44:45]
; %bb.204:                              ;   in Loop: Header=BB2_199 Depth=2
	v_bfe_u32 v17, v16, 16, 1
	v_add3_u32 v56, v16, v17, s63
                                        ; implicit-def: $vgpr16_vgpr17
; %bb.205:                              ;   in Loop: Header=BB2_199 Depth=2
	s_andn2_saveexec_b64 s[44:45], vcc
; %bb.206:                              ;   in Loop: Header=BB2_199 Depth=2
	v_or_b32_e32 v17, 0x10000, v16
	v_cmp_eq_u32_sdwa vcc, v16, v51 src0_sel:WORD_0 src1_sel:DWORD
	s_nop 1
	v_cndmask_b32_e32 v56, v17, v16, vcc
; %bb.207:                              ;   in Loop: Header=BB2_199 Depth=2
	s_or_b64 exec, exec, s[44:45]
	v_lshlrev_b32_e32 v16, 16, v58
	v_lshlrev_b32_e32 v22, 16, v57
	v_pk_mul_f32 v[16:17], v[16:17], v[22:23] op_sel_hi:[0,1]
	v_and_b32_e32 v17, 0x7f800000, v16
	v_cmp_ne_u32_e32 vcc, s62, v17
                                        ; implicit-def: $vgpr57
	s_and_saveexec_b64 s[44:45], vcc
	s_xor_b64 vcc, exec, s[44:45]
; %bb.208:                              ;   in Loop: Header=BB2_199 Depth=2
	v_bfe_u32 v17, v16, 16, 1
	v_add3_u32 v57, v16, v17, s63
                                        ; implicit-def: $vgpr16_vgpr17
; %bb.209:                              ;   in Loop: Header=BB2_199 Depth=2
	s_andn2_saveexec_b64 s[44:45], vcc
; %bb.210:                              ;   in Loop: Header=BB2_199 Depth=2
	v_or_b32_e32 v17, 0x10000, v16
	v_cmp_eq_u32_sdwa vcc, v16, v51 src0_sel:WORD_0 src1_sel:DWORD
	s_nop 1
	v_cndmask_b32_e32 v57, v17, v16, vcc
; %bb.211:                              ;   in Loop: Header=BB2_199 Depth=2
	s_or_b64 exec, exec, s[44:45]
	v_lshlrev_b32_e32 v16, 16, v47
	v_lshlrev_b32_e32 v22, 16, v39
	v_pk_mul_f32 v[16:17], v[16:17], v[22:23] op_sel_hi:[0,1]
	v_and_b32_e32 v17, 0x7f800000, v16
	v_cmp_ne_u32_e32 vcc, s62, v17
                                        ; implicit-def: $vgpr39
	s_and_saveexec_b64 s[44:45], vcc
	s_xor_b64 vcc, exec, s[44:45]
; %bb.212:                              ;   in Loop: Header=BB2_199 Depth=2
	v_bfe_u32 v17, v16, 16, 1
	v_add3_u32 v39, v16, v17, s63
                                        ; implicit-def: $vgpr16_vgpr17
; %bb.213:                              ;   in Loop: Header=BB2_199 Depth=2
	s_andn2_saveexec_b64 s[44:45], vcc
	s_cbranch_execz .LBB2_198
; %bb.214:                              ;   in Loop: Header=BB2_199 Depth=2
	v_or_b32_e32 v17, 0x10000, v16
	v_cmp_eq_u32_sdwa vcc, v16, v51 src0_sel:WORD_0 src1_sel:DWORD
	s_nop 1
	v_cndmask_b32_e32 v39, v17, v16, vcc
	s_branch .LBB2_198
.LBB2_215:                              ;   in Loop: Header=BB2_49 Depth=1
	s_or_b64 exec, exec, s[42:43]
	v_accvgpr_read_b32 v59, a7
	v_accvgpr_read_b32 v58, a6
.LBB2_216:                              ;   in Loop: Header=BB2_49 Depth=1
	s_or_b64 exec, exec, s[40:41]
	v_lshlrev_b32_e32 v10, 9, v30
	v_cmp_ne_u32_e32 vcc, v53, v10
	s_and_b64 vcc, exec, vcc
	v_mov_b32_e32 v22, 1
	s_mov_b64 exec, vcc
	s_cbranch_execz .LBB2_224
; %bb.217:                              ;   in Loop: Header=BB2_49 Depth=1
	v_lshlrev_b32_e32 v2, 6, v2
	v_sub_u32_e32 v2, v20, v2
	v_lshlrev_b32_e32 v11, 6, v21
	v_sub_u32_e32 v2, v2, v11
	v_ashrrev_i32_e32 v11, 31, v2
	v_lshrrev_b32_e32 v11, 26, v11
	v_add_u32_e32 v11, v2, v11
	v_and_b32_e32 v12, 0x7fffffc0, v11
	v_sub_u32_e32 v2, v2, v12
	v_lshlrev_b32_e32 v11, 1, v11
	v_and_b32_e32 v11, 0xffffff80, v11
	v_lshlrev_b32_e32 v2, 1, v2
	v_add3_u32 v10, v11, v2, v10
	v_sub_u32_e32 v2, v53, v10
	v_cmp_lt_i32_e32 vcc, 1, v2
	s_and_b64 exec, exec, vcc
	s_cbranch_execz .LBB2_224
; %bb.218:                              ;   in Loop: Header=BB2_49 Depth=1
	s_trap 2
	ds_read_b128 v[12:15], v0
	ds_read_b64 v[16:17], v0
	v_add_u32_e32 v20, v10, v3
	v_ashrrev_i32_e32 v21, 31, v20
	s_mov_b64 s[40:41], 0
	s_waitcnt lgkmcnt(0)
	v_lshl_add_u64 v[10:11], v[12:13], 0, v[20:21]
	v_lshl_add_u64 v[12:13], v[14:15], 0, v[20:21]
	;; [unrolled: 1-line block ×3, first 2 shown]
	s_branch .LBB2_220
.LBB2_219:                              ;   in Loop: Header=BB2_220 Depth=2
	s_or_b64 exec, exec, s[42:43]
	v_sub_u32_e32 v2, v2, v61
	v_cmp_gt_i32_e32 vcc, 2, v2
	flat_store_short_d16_hi v[14:15], v3 nt
	v_lshl_add_u64 v[10:11], v[10:11], 0, v[42:43]
	v_lshl_add_u64 v[12:13], v[12:13], 0, v[42:43]
	s_or_b64 s[40:41], vcc, s[40:41]
	v_lshl_add_u64 v[14:15], v[14:15], 0, v[42:43]
	s_andn2_b64 exec, exec, s[40:41]
	s_cbranch_execz .LBB2_224
.LBB2_220:                              ;   Parent Loop BB2_49 Depth=1
                                        ; =>  This Inner Loop Header: Depth=2
	flat_load_ushort v3, v[12:13] nt
	flat_load_ushort v17, v[10:11] nt
	s_waitcnt vmcnt(0) lgkmcnt(0)
	v_lshlrev_b32_e32 v16, 16, v3
	v_lshlrev_b32_e32 v20, 16, v17
	v_pk_mul_f32 v[16:17], v[16:17], v[20:21] op_sel_hi:[0,1]
	v_and_b32_e32 v3, 0x7f800000, v16
	v_cmp_ne_u32_e32 vcc, s62, v3
                                        ; implicit-def: $vgpr3
	s_and_saveexec_b64 s[42:43], vcc
	s_xor_b64 vcc, exec, s[42:43]
; %bb.221:                              ;   in Loop: Header=BB2_220 Depth=2
	v_bfe_u32 v3, v16, 16, 1
	v_add3_u32 v3, v16, v3, s63
                                        ; implicit-def: $vgpr16_vgpr17
; %bb.222:                              ;   in Loop: Header=BB2_220 Depth=2
	s_andn2_saveexec_b64 s[42:43], vcc
	s_cbranch_execz .LBB2_219
; %bb.223:                              ;   in Loop: Header=BB2_220 Depth=2
	v_or_b32_e32 v3, 0x10000, v16
	v_cmp_eq_u32_sdwa vcc, v16, v51 src0_sel:WORD_0 src1_sel:DWORD
	s_nop 1
	v_cndmask_b32_e32 v3, v3, v16, vcc
	s_branch .LBB2_219
.LBB2_224:                              ;   in Loop: Header=BB2_49 Depth=1
	s_or_b64 exec, exec, s[18:19]
	v_cmp_ne_u32_e64 s[18:19], 0, v50
.LBB2_225:                              ;   in Loop: Header=BB2_49 Depth=1
	s_and_saveexec_b64 s[40:41], s[6:7]
	s_cbranch_execz .LBB2_244
; %bb.226:                              ;   in Loop: Header=BB2_49 Depth=1
	s_and_saveexec_b64 vcc, s[28:29]
	s_xor_b64 s[42:43], exec, vcc
	s_cbranch_execz .LBB2_241
; %bb.227:                              ;   in Loop: Header=BB2_49 Depth=1
	s_and_saveexec_b64 s[44:45], s[10:11]
	s_cbranch_execz .LBB2_240
; %bb.228:                              ;   in Loop: Header=BB2_49 Depth=1
	s_mov_b64 s[48:49], exec
	v_mbcnt_lo_u32_b32 v2, s48, 0
	v_mbcnt_hi_u32_b32 v2, s49, v2
	v_cmp_eq_u32_e32 vcc, 0, v2
	s_waitcnt lgkmcnt(0)
	s_and_saveexec_b64 s[46:47], vcc
	s_cbranch_execz .LBB2_230
; %bb.229:                              ;   in Loop: Header=BB2_49 Depth=1
	s_bcnt1_i32_b64 vcc_lo, s[48:49]
	v_mov_b32_e32 v50, vcc_lo
	ds_add_u64 v0, v[50:51]
	s_trap 2
.LBB2_230:                              ;   in Loop: Header=BB2_49 Depth=1
	s_or_b64 exec, exec, s[46:47]
	s_trap 2
	ds_read_b64 v[2:3], v0
	v_lshl_add_u64 v[32:33], v[32:33], 0, v[48:49]
	s_waitcnt lgkmcnt(0)
	v_cmp_lt_u64_e32 vcc, v[2:3], v[32:33]
	s_and_saveexec_b64 s[46:47], vcc
	s_cbranch_execz .LBB2_239
; %bb.231:                              ;   in Loop: Header=BB2_49 Depth=1
	s_mov_b32 s65, 0
	s_mov_b64 s[48:49], 0
                                        ; implicit-def: $sgpr50_sgpr51
                                        ; implicit-def: $sgpr52_sgpr53
	s_branch .LBB2_233
.LBB2_232:                              ;   in Loop: Header=BB2_233 Depth=2
	s_or_b64 exec, exec, s[56:57]
	s_and_b64 vcc, exec, vcc
	s_or_b64 s[48:49], vcc, s[48:49]
	s_andn2_b64 vcc, s[50:51], exec
	s_and_b64 s[50:51], s[52:53], exec
	s_or_b64 s[50:51], vcc, s[50:51]
	s_andn2_b64 exec, exec, s[48:49]
	s_cbranch_execz .LBB2_237
.LBB2_233:                              ;   Parent Loop BB2_49 Depth=1
                                        ; =>  This Inner Loop Header: Depth=2
	s_add_i32 s65, s65, 1
	s_cmpk_lg_i32 s65, 0x2710
	s_cselect_b64 s[54:55], -1, 0
	s_and_b64 vcc, exec, s[54:55]
                                        ; implicit-def: $sgpr56_sgpr57
	s_cbranch_vccnz .LBB2_235
; %bb.234:                              ;   in Loop: Header=BB2_233 Depth=2
	s_trap 2
	ds_read_b64 v[2:3], v0
	s_andn2_b64 s[54:55], s[54:55], exec
	s_mov_b32 s65, 0
	s_mov_b64 s[56:57], -1
	s_waitcnt vmcnt(0) lgkmcnt(0)
	flat_load_dword v2, v[2:3] sc0 sc1
	s_waitcnt vmcnt(0) lgkmcnt(0)
	buffer_inv sc0 sc1
	v_cmp_eq_u32_e32 vcc, 0, v2
	s_and_b64 vcc, vcc, exec
	s_or_b64 s[54:55], s[54:55], vcc
.LBB2_235:                              ;   in Loop: Header=BB2_233 Depth=2
	s_andn2_b64 s[52:53], s[52:53], exec
	s_and_b64 s[56:57], s[56:57], exec
	s_mov_b64 vcc, -1
	s_or_b64 s[52:53], s[52:53], s[56:57]
	s_and_saveexec_b64 s[56:57], s[54:55]
	s_cbranch_execz .LBB2_232
; %bb.236:                              ;   in Loop: Header=BB2_233 Depth=2
	s_sleep 1
	s_trap 2
	ds_read_b64 v[2:3], v0
	s_andn2_b64 s[52:53], s[52:53], exec
	s_waitcnt lgkmcnt(0)
	v_cmp_ge_u64_e32 vcc, v[2:3], v[32:33]
	s_orn2_b64 vcc, vcc, exec
	s_branch .LBB2_232
.LBB2_237:                              ;   in Loop: Header=BB2_49 Depth=1
	s_or_b64 exec, exec, s[48:49]
	s_and_saveexec_b64 vcc, s[50:51]
	s_xor_b64 vcc, exec, vcc
	s_cbranch_execz .LBB2_239
; %bb.238:                              ;   in Loop: Header=BB2_49 Depth=1
	ds_write_b32 v0, v22
	s_trap 2
.LBB2_239:                              ;   in Loop: Header=BB2_49 Depth=1
	s_or_b64 exec, exec, s[46:47]
	;;#ASMSTART
	s_wakeup
	;;#ASMEND
.LBB2_240:                              ;   in Loop: Header=BB2_49 Depth=1
	s_or_b64 exec, exec, s[44:45]
.LBB2_241:                              ;   in Loop: Header=BB2_49 Depth=1
	s_andn2_saveexec_b64 vcc, s[42:43]
	s_cbranch_execz .LBB2_243
; %bb.242:                              ;   in Loop: Header=BB2_49 Depth=1
	s_waitcnt lgkmcnt(0)
	s_barrier
.LBB2_243:                              ;   in Loop: Header=BB2_49 Depth=1
	s_or_b64 exec, exec, vcc
.LBB2_244:                              ;   in Loop: Header=BB2_49 Depth=1
	s_or_b64 exec, exec, s[40:41]
	v_and_b32_e32 v2, 16, v62
	v_cmp_ne_u32_e32 vcc, 0, v2
	s_and_b64 vcc, vcc, s[18:19]
	s_and_saveexec_b64 s[18:19], vcc
	s_cbranch_execz .LBB2_246
; %bb.245:                              ;   in Loop: Header=BB2_49 Depth=1
	buffer_wbl2 sc1
	s_waitcnt vmcnt(0) lgkmcnt(0)
	buffer_inv sc1
.LBB2_246:                              ;   in Loop: Header=BB2_49 Depth=1
	s_or_b64 exec, exec, s[18:19]
	v_cmp_ne_u32_e32 vcc, 0, v2
	s_xor_b64 s[18:19], s[16:17], -1
	s_and_b64 vcc, vcc, s[18:19]
	s_and_saveexec_b64 s[18:19], vcc
	s_cbranch_execz .LBB2_248
; %bb.247:                              ;   in Loop: Header=BB2_49 Depth=1
	flat_store_dword v[58:59], v22 sc0 sc1
.LBB2_248:                              ;   in Loop: Header=BB2_49 Depth=1
	s_or_b64 exec, exec, s[18:19]
	v_and_b32_e32 v2, 48, v62
	v_cmp_ne_u32_e32 vcc, 0, v2
	s_and_saveexec_b64 s[18:19], vcc
	s_cbranch_execz .LBB2_250
; %bb.249:                              ;   in Loop: Header=BB2_49 Depth=1
	v_lshl_add_u64 v[8:9], v[8:9], 0, 1
	flat_store_dwordx2 v[24:25], v[8:9] sc0 sc1
.LBB2_250:                              ;   in Loop: Header=BB2_49 Depth=1
	s_or_b64 exec, exec, s[18:19]
	v_mov_b32_e32 v2, v52
.LBB2_251:                              ;   in Loop: Header=BB2_49 Depth=1
	s_or_b64 exec, exec, s[38:39]
	s_and_saveexec_b64 s[38:39], s[36:37]
	s_cbranch_execz .LBB2_48
; %bb.252:                              ;   in Loop: Header=BB2_49 Depth=1
	v_and_b32_e32 v3, 12, v62
	v_cmp_ne_u32_e32 vcc, 0, v3
	s_mov_b64 s[36:37], -1
	v_lshl_add_u64 v[12:13], v[8:9], 0, 1
	s_and_saveexec_b64 s[18:19], vcc
	s_cbranch_execz .LBB2_264
; %bb.253:                              ;   in Loop: Header=BB2_49 Depth=1
	v_and_b32_e32 v50, 8, v62
	v_lshl_add_u64 v[14:15], v[28:29], 0, v[50:51]
	v_lshl_add_u64 v[10:11], v[8:9], 0, 1
	v_cmp_lt_u64_e32 vcc, v[14:15], v[10:11]
	v_mov_b32_e32 v3, 1
	s_and_saveexec_b64 s[36:37], vcc
	s_cbranch_execz .LBB2_263
; %bb.254:                              ;   in Loop: Header=BB2_49 Depth=1
	s_mov_b64 s[40:41], 0
	v_mov_b32_e32 v3, 0
                                        ; implicit-def: $sgpr42_sgpr43
	s_branch .LBB2_258
.LBB2_255:                              ;   in Loop: Header=BB2_258 Depth=2
	s_or_b64 exec, exec, s[50:51]
	v_mov_b32_e32 v14, 0
	s_orn2_b64 s[48:49], s[48:49], exec
.LBB2_256:                              ;   in Loop: Header=BB2_258 Depth=2
	s_or_b64 exec, exec, s[46:47]
	s_andn2_b64 vcc, s[42:43], exec
	s_and_b64 s[42:43], s[48:49], exec
	s_or_b64 s[42:43], vcc, s[42:43]
	v_mov_b32_e32 v3, v14
.LBB2_257:                              ;   in Loop: Header=BB2_258 Depth=2
	s_or_b64 exec, exec, s[44:45]
	s_waitcnt vmcnt(0) lgkmcnt(0)
	v_lshl_add_u64 v[14:15], v[28:29], 0, v[50:51]
	v_cmp_ge_u64_e32 vcc, v[14:15], v[10:11]
	s_xor_b64 s[44:45], s[42:43], -1
	s_or_b64 vcc, s[44:45], vcc
	s_and_b64 vcc, exec, vcc
	s_or_b64 s[40:41], vcc, s[40:41]
	s_andn2_b64 exec, exec, s[40:41]
	s_cbranch_execz .LBB2_262
.LBB2_258:                              ;   Parent Loop BB2_49 Depth=1
                                        ; =>  This Inner Loop Header: Depth=2
	s_sleep 1
	flat_load_dwordx2 v[28:29], v[24:25] sc0 sc1
	v_and_b32_e32 v14, 64, v62
	v_cmp_eq_u32_e32 vcc, 0, v14
	s_andn2_b64 s[42:43], s[42:43], exec
	s_and_saveexec_b64 s[44:45], vcc
	s_cbranch_execz .LBB2_257
; %bb.259:                              ;   in Loop: Header=BB2_258 Depth=2
	v_add_u32_e32 v14, 1, v3
	v_cmp_lt_i32_e32 vcc, s60, v3
	s_mov_b64 s[48:49], -1
	s_and_saveexec_b64 s[46:47], vcc
	s_cbranch_execz .LBB2_256
; %bb.260:                              ;   in Loop: Header=BB2_258 Depth=2
	s_trap 2
	ds_read_b64 v[14:15], v0
	s_waitcnt vmcnt(0) lgkmcnt(0)
	flat_load_dword v3, v[14:15] sc0 sc1
	s_waitcnt vmcnt(0) lgkmcnt(0)
	buffer_inv sc0 sc1
	v_cmp_ne_u32_e32 vcc, 0, v3
	s_and_saveexec_b64 s[50:51], vcc
	s_cbranch_execz .LBB2_255
; %bb.261:                              ;   in Loop: Header=BB2_258 Depth=2
	v_or_b32_e32 v62, 64, v62
	s_xor_b64 s[48:49], exec, -1
	ds_write_b32 v0, v3
	s_trap 2
	s_branch .LBB2_255
.LBB2_262:                              ;   in Loop: Header=BB2_49 Depth=1
	s_or_b64 exec, exec, s[40:41]
	v_and_b32_e32 v3, 12, v62
.LBB2_263:                              ;   in Loop: Header=BB2_49 Depth=1
	s_or_b64 exec, exec, s[36:37]
	v_cmp_eq_u32_e32 vcc, 0, v3
	s_orn2_b64 s[36:37], vcc, exec
	;;#ASMSTART
	s_wakeup
	;;#ASMEND
.LBB2_264:                              ;   in Loop: Header=BB2_49 Depth=1
	s_or_b64 exec, exec, s[18:19]
	v_sub_u32_e32 v2, v46, v2
	s_xor_b64 s[18:19], s[36:37], -1
	v_min_i32_e32 v10, v52, v2
	s_and_saveexec_b64 s[36:37], s[18:19]
	s_cbranch_execz .LBB2_276
; %bb.265:                              ;   in Loop: Header=BB2_49 Depth=1
	v_and_b32_e32 v2, 0x108, v62
	v_cmp_ne_u32_e32 vcc, s61, v2
	v_and_b32_e32 v8, 7, v8
	s_and_saveexec_b64 s[18:19], vcc
	s_xor_b64 s[18:19], exec, s[18:19]
	s_andn2_saveexec_b64 s[18:19], s[18:19]
	s_cbranch_execz .LBB2_267
; %bb.266:                              ;   in Loop: Header=BB2_49 Depth=1
	v_ashrrev_i32_e32 v11, 31, v10
	v_mad_u64_u32 v[2:3], vcc, v8, 24, v[6:7]
	v_lshlrev_b64 v[14:15], 1, v[10:11]
	flat_store_dwordx2 v[2:3], v[14:15] offset:8
.LBB2_267:                              ;   in Loop: Header=BB2_49 Depth=1
	s_or_b64 exec, exec, s[18:19]
	v_and_b32_e32 v2, 0x100, v62
	v_cmp_ne_u32_e32 vcc, 0, v2
	s_mov_b64 s[18:19], -1
                                        ; implicit-def: $vgpr14_vgpr15
	s_and_saveexec_b64 s[40:41], vcc
	s_cbranch_execz .LBB2_271
; %bb.268:                              ;   in Loop: Header=BB2_49 Depth=1
	v_mad_u64_u32 v[16:17], s[18:19], v8, 24, v[6:7]
	v_mov_b32_e32 v2, v17
	v_mad_u64_u32 v[2:3], s[18:19], v51, 24, v[2:3]
	v_mov_b32_e32 v17, v2
	flat_load_dword v2, v[16:17]
                                        ; implicit-def: $vgpr14_vgpr15
	s_waitcnt vmcnt(0) lgkmcnt(0)
	v_cmp_ne_u32_e32 vcc, 1, v2
	v_cmp_eq_u32_e64 s[18:19], 1, v2
	s_and_saveexec_b64 s[42:43], s[18:19]
	s_cbranch_execz .LBB2_270
; %bb.269:                              ;   in Loop: Header=BB2_49 Depth=1
	flat_load_dword v2, v[16:17] offset:4 sc0 sc1
	s_waitcnt vmcnt(0) lgkmcnt(0)
	v_ashrrev_i32_e32 v3, 31, v2
	v_lshrrev_b64 v[14:15], 1, v[2:3]
.LBB2_270:                              ;   in Loop: Header=BB2_49 Depth=1
	s_or_b64 exec, exec, s[42:43]
	s_orn2_b64 s[18:19], vcc, exec
.LBB2_271:                              ;   in Loop: Header=BB2_49 Depth=1
	s_or_b64 exec, exec, s[40:41]
	s_and_saveexec_b64 vcc, s[18:19]
; %bb.272:                              ;   in Loop: Header=BB2_49 Depth=1
	v_mul_lo_u32 v2, v51, v60
	v_mul_lo_u32 v3, v8, v37
	v_mad_u64_u32 v[14:15], s[18:19], v8, v60, 0
	v_add3_u32 v15, v15, v3, v2
; %bb.273:                              ;   in Loop: Header=BB2_49 Depth=1
	s_or_b64 exec, exec, vcc
	v_lshl_add_u64 v[2:3], v[14:15], 1, v[26:27]
	s_trap 2
	ds_write_b64 v0, v[2:3]
	v_and_b32_e32 v2, 0x2000, v62
	v_cmp_ne_u32_e32 vcc, 0, v2
	s_and_saveexec_b64 s[18:19], vcc
	s_cbranch_execz .LBB2_275
; %bb.274:                              ;   in Loop: Header=BB2_49 Depth=1
	ds_read_b64 v[2:3], v0 offset:584
	s_waitcnt lgkmcnt(0)
	v_lshl_add_u64 v[2:3], v[2:3], 0, 1
	ds_write_b64 v0, v[2:3] offset:584
.LBB2_275:                              ;   in Loop: Header=BB2_49 Depth=1
	s_or_b64 exec, exec, s[18:19]
	v_mov_b64_e32 v[8:9], v[12:13]
.LBB2_276:                              ;   in Loop: Header=BB2_49 Depth=1
	s_or_b64 exec, exec, s[36:37]
	s_and_saveexec_b64 s[18:19], s[6:7]
	s_cbranch_execz .LBB2_295
; %bb.277:                              ;   in Loop: Header=BB2_49 Depth=1
	s_and_saveexec_b64 vcc, s[28:29]
	s_xor_b64 s[36:37], exec, vcc
	s_cbranch_execz .LBB2_292
; %bb.278:                              ;   in Loop: Header=BB2_49 Depth=1
	s_and_saveexec_b64 s[40:41], s[10:11]
	s_cbranch_execz .LBB2_291
; %bb.279:                              ;   in Loop: Header=BB2_49 Depth=1
	s_mov_b64 s[44:45], exec
	v_mbcnt_lo_u32_b32 v2, s44, 0
	v_mbcnt_hi_u32_b32 v2, s45, v2
	v_cmp_eq_u32_e32 vcc, 0, v2
	s_waitcnt lgkmcnt(0)
	s_and_saveexec_b64 s[42:43], vcc
	s_cbranch_execz .LBB2_281
; %bb.280:                              ;   in Loop: Header=BB2_49 Depth=1
	s_bcnt1_i32_b64 vcc_lo, s[44:45]
	v_mov_b32_e32 v50, vcc_lo
	ds_add_u64 v0, v[50:51]
	s_trap 2
.LBB2_281:                              ;   in Loop: Header=BB2_49 Depth=1
	s_or_b64 exec, exec, s[42:43]
	s_trap 2
	ds_read_b64 v[2:3], v0
	v_lshl_add_u64 v[32:33], v[32:33], 0, v[48:49]
	s_waitcnt lgkmcnt(0)
	v_cmp_lt_u64_e32 vcc, v[2:3], v[32:33]
	s_and_saveexec_b64 s[42:43], vcc
	s_cbranch_execz .LBB2_290
; %bb.282:                              ;   in Loop: Header=BB2_49 Depth=1
	s_mov_b32 s54, 0
	s_mov_b64 s[44:45], 0
                                        ; implicit-def: $sgpr46_sgpr47
                                        ; implicit-def: $sgpr48_sgpr49
	s_branch .LBB2_284
.LBB2_283:                              ;   in Loop: Header=BB2_284 Depth=2
	s_or_b64 exec, exec, s[52:53]
	s_and_b64 vcc, exec, vcc
	s_or_b64 s[44:45], vcc, s[44:45]
	s_andn2_b64 vcc, s[46:47], exec
	s_and_b64 s[46:47], s[48:49], exec
	s_or_b64 s[46:47], vcc, s[46:47]
	s_andn2_b64 exec, exec, s[44:45]
	s_cbranch_execz .LBB2_288
.LBB2_284:                              ;   Parent Loop BB2_49 Depth=1
                                        ; =>  This Inner Loop Header: Depth=2
	s_add_i32 s54, s54, 1
	s_cmpk_lg_i32 s54, 0x2710
	s_cselect_b64 s[50:51], -1, 0
	s_and_b64 vcc, exec, s[50:51]
                                        ; implicit-def: $sgpr52_sgpr53
	s_cbranch_vccnz .LBB2_286
; %bb.285:                              ;   in Loop: Header=BB2_284 Depth=2
	s_trap 2
	ds_read_b64 v[2:3], v0
	s_andn2_b64 s[50:51], s[50:51], exec
	s_mov_b32 s54, 0
	s_mov_b64 s[52:53], -1
	s_waitcnt vmcnt(0) lgkmcnt(0)
	flat_load_dword v2, v[2:3] sc0 sc1
	s_waitcnt vmcnt(0) lgkmcnt(0)
	buffer_inv sc0 sc1
	v_cmp_eq_u32_e32 vcc, 0, v2
	s_and_b64 vcc, vcc, exec
	s_or_b64 s[50:51], s[50:51], vcc
.LBB2_286:                              ;   in Loop: Header=BB2_284 Depth=2
	s_andn2_b64 s[48:49], s[48:49], exec
	s_and_b64 s[52:53], s[52:53], exec
	s_mov_b64 vcc, -1
	s_or_b64 s[48:49], s[48:49], s[52:53]
	s_and_saveexec_b64 s[52:53], s[50:51]
	s_cbranch_execz .LBB2_283
; %bb.287:                              ;   in Loop: Header=BB2_284 Depth=2
	s_sleep 1
	s_trap 2
	ds_read_b64 v[2:3], v0
	s_andn2_b64 s[48:49], s[48:49], exec
	s_waitcnt lgkmcnt(0)
	v_cmp_ge_u64_e32 vcc, v[2:3], v[32:33]
	s_orn2_b64 vcc, vcc, exec
	s_branch .LBB2_283
.LBB2_288:                              ;   in Loop: Header=BB2_49 Depth=1
	s_or_b64 exec, exec, s[44:45]
	s_and_saveexec_b64 vcc, s[46:47]
	s_xor_b64 vcc, exec, vcc
	s_cbranch_execz .LBB2_290
; %bb.289:                              ;   in Loop: Header=BB2_49 Depth=1
	ds_write_b32 v0, v22
	s_trap 2
.LBB2_290:                              ;   in Loop: Header=BB2_49 Depth=1
	s_or_b64 exec, exec, s[42:43]
	;;#ASMSTART
	s_wakeup
	;;#ASMEND
.LBB2_291:                              ;   in Loop: Header=BB2_49 Depth=1
	s_or_b64 exec, exec, s[40:41]
.LBB2_292:                              ;   in Loop: Header=BB2_49 Depth=1
	s_andn2_saveexec_b64 vcc, s[36:37]
	s_cbranch_execz .LBB2_294
; %bb.293:                              ;   in Loop: Header=BB2_49 Depth=1
	s_waitcnt lgkmcnt(0)
	s_barrier
.LBB2_294:                              ;   in Loop: Header=BB2_49 Depth=1
	s_or_b64 exec, exec, vcc
.LBB2_295:                              ;   in Loop: Header=BB2_49 Depth=1
	s_or_b64 exec, exec, s[18:19]
	s_trap 2
	ds_read_b32 v3, v0
	v_cmp_lt_i32_e32 vcc, 0, v10
	v_and_b32_e32 v2, 16, v62
	s_waitcnt lgkmcnt(0)
	v_readfirstlane_b32 s18, v3
	s_cmp_eq_u32 s18, 0
	s_cselect_b64 s[18:19], -1, 0
	s_and_b64 s[18:19], vcc, s[18:19]
	v_cmp_ne_u32_e32 vcc, 0, v2
	s_and_b64 vcc, vcc, s[18:19]
	s_and_saveexec_b64 s[18:19], vcc
	s_cbranch_execz .LBB2_297
; %bb.296:                              ;   in Loop: Header=BB2_49 Depth=1
	buffer_wbl2 sc1
	s_waitcnt vmcnt(0)
	buffer_inv sc1
.LBB2_297:                              ;   in Loop: Header=BB2_49 Depth=1
	s_or_b64 exec, exec, s[18:19]
	v_cmp_ne_u32_e32 vcc, 0, v2
	s_xor_b64 s[18:19], s[16:17], -1
	s_and_b64 vcc, vcc, s[18:19]
	s_and_saveexec_b64 s[18:19], vcc
	s_cbranch_execz .LBB2_299
; %bb.298:                              ;   in Loop: Header=BB2_49 Depth=1
	flat_store_dword v[58:59], v22 sc0 sc1
.LBB2_299:                              ;   in Loop: Header=BB2_49 Depth=1
	s_or_b64 exec, exec, s[18:19]
	v_and_b32_e32 v2, 48, v62
	v_cmp_ne_u32_e32 vcc, 0, v2
	s_and_saveexec_b64 s[18:19], vcc
	s_cbranch_execz .LBB2_47
; %bb.300:                              ;   in Loop: Header=BB2_49 Depth=1
	v_lshl_add_u64 v[8:9], v[8:9], 0, 1
	flat_store_dwordx2 v[24:25], v[8:9] sc0 sc1
	s_branch .LBB2_47
.LBB2_301:
	s_or_b64 exec, exec, s[30:31]
	v_mov_b32_e32 v31, v23
	v_accvgpr_read_b32 v23, a1
	v_mov_b32_e32 v21, v36
	v_accvgpr_read_b32 v22, a0
.LBB2_302:
	s_or_b64 exec, exec, s[26:27]
                                        ; implicit-def: $vgpr18_vgpr19
                                        ; implicit-def: $vgpr4_vgpr5
                                        ; implicit-def: $vgpr60
                                        ; implicit-def: $vgpr28_vgpr29
                                        ; implicit-def: $vgpr26_vgpr27
                                        ; implicit-def: $vgpr24_vgpr25
                                        ; implicit-def: $vgpr0
                                        ; implicit-def: $vgpr15
                                        ; implicit-def: $vgpr34_vgpr35
.LBB2_303:
	s_andn2_saveexec_b64 s[16:17], s[24:25]
	s_cbranch_execz .LBB2_554
; %bb.304:
	v_mov_b64_e32 v[32:33], 0
	s_and_saveexec_b64 s[18:19], s[2:3]
	s_cbranch_execz .LBB2_553
; %bb.305:
	v_and_b32_e32 v2, 63, v31
	v_cmp_eq_u32_e64 s[6:7], 0, v2
	v_ashrrev_i32_e32 v2, 31, v0
	v_lshrrev_b32_e32 v2, 26, v2
	v_add_u32_e32 v2, v0, v2
	v_and_b32_e32 v3, 0xffffffc0, v2
	v_ashrrev_i32_e32 v2, 6, v2
	v_sub_u32_e32 v2, 0, v2
	v_sub_u32_e32 v3, v0, v3
	v_accvgpr_write_b32 a7, v2
	v_lshlrev_b32_e32 v2, 4, v0
	v_lshrrev_b32_e32 v36, 6, v1
	v_cmp_le_i32_e64 s[10:11], v3, v15
	v_accvgpr_write_b32 a1, v3
	v_cmp_gt_i32_e64 s[12:13], 1, v3
	v_ashrrev_i32_e32 v3, 31, v2
	v_accvgpr_write_b32 a9, v3
	v_lshlrev_b32_e32 v30, 10, v36
	v_accvgpr_write_b32 a8, v2
	v_add_u32_e32 v2, 0xfffffc00, v30
	v_ashrrev_i32_e32 v3, 31, v2
	s_mov_b64 s[14:15], 0x400
	v_lshl_add_u64 v[50:51], v[2:3], 0, s[14:15]
	v_mov_b32_e32 v2, 0xfffffe00
	v_lshl_add_u32 v2, v36, 9, v2
	v_accvgpr_write_b32 a6, v60
	v_ashrrev_i32_e32 v3, 31, v2
	s_mov_b64 s[14:15], 0x200
	v_lshlrev_b32_e32 v60, 7, v36
	s_lshr_b32 s2, s58, 27
	v_lshl_add_u64 v[52:53], v[2:3], 0, s[14:15]
	v_add_u32_e32 v2, 0xffffff80, v60
	v_accvgpr_write_b32 a4, v22
	s_add_i32 s2, s58, s2
	v_cmp_eq_u32_e32 vcc, 64, v1
	v_mov_b32_e32 v39, 0
	v_ashrrev_i32_e32 v3, 31, v2
	s_mov_b64 s[14:15], 0x80
	v_mov_b64_e32 v[40:41], 0
	v_accvgpr_write_b32 a5, v23
	s_ashr_i32 s54, s2, 5
	v_cmp_ge_i32_e64 s[2:3], v0, v1
	v_cmp_ne_u32_e64 s[4:5], 64, v1
	v_accvgpr_write_b32 a0, v21
	v_cmp_ne_u32_sdwa s[24:25], v21, v1 src0_sel:WORD_0 src1_sel:DWORD
	v_mov_b32_e32 v23, v31
	v_mov_b32_e32 v37, v39
	v_lshl_add_u64 v[54:55], v[2:3], 0, s[14:15]
	s_mov_b64 s[26:27], 0
	s_movk_i32 s55, 0x270e
	s_xor_b64 s[28:29], vcc, -1
	s_mov_b32 s56, 0x7f800000
	s_movk_i32 s57, 0x7fff
	s_mov_b32 s59, 0xffff0000
	v_mov_b64_e32 v[32:33], v[40:41]
	s_trap 2
	s_branch .LBB2_308
.LBB2_306:                              ;   in Loop: Header=BB2_308 Depth=1
	s_or_b64 exec, exec, s[14:15]
.LBB2_307:                              ;   in Loop: Header=BB2_308 Depth=1
	s_or_b64 exec, exec, s[34:35]
	v_lshl_add_u64 v[40:41], v[40:41], 0, v[34:35]
	v_cmp_ge_u64_e32 vcc, v[40:41], v[4:5]
	s_or_b64 s[26:27], vcc, s[26:27]
	s_andn2_b64 exec, exec, s[26:27]
	s_cbranch_execz .LBB2_552
.LBB2_308:                              ; =>This Loop Header: Depth=1
                                        ;     Child Loop BB2_319 Depth 2
                                        ;     Child Loop BB2_341 Depth 2
	;; [unrolled: 1-line block ×10, first 2 shown]
	v_sub_co_u32_e32 v2, vcc, v4, v40
	s_nop 1
	v_subb_co_u32_e32 v3, vcc, v5, v41, vcc
	v_cmp_lt_u64_e32 vcc, v[34:35], v[2:3]
	s_nop 1
	v_cndmask_b32_e64 v43, v3, 0, vcc
	v_cndmask_b32_e32 v42, v2, v34, vcc
	v_add_u32_e32 v2, 15, v42
	v_cmp_eq_u64_e32 vcc, 0, v[42:43]
	v_and_b32_e32 v2, 0x3ffffff0, v2
	s_or_b64 s[30:31], s[2:3], vcc
	v_max_i32_e32 v61, s54, v2
	s_xor_b64 s[14:15], s[30:31], -1
	v_mov_b32_e32 v3, 0
	s_and_saveexec_b64 s[34:35], s[14:15]
	s_cbranch_execz .LBB2_506
; %bb.309:                              ;   in Loop: Header=BB2_308 Depth=1
	s_and_saveexec_b64 s[14:15], s[0:1]
	s_cbranch_execz .LBB2_311
; %bb.310:                              ;   in Loop: Header=BB2_308 Depth=1
	s_trap 2
	ds_read2_b64 v[10:13], v0 offset1:1
	ds_read_b64 v[14:15], v0
	v_lshl_add_u64 v[2:3], v[40:41], 0, v[18:19]
	v_lshlrev_b64 v[2:3], 1, v[2:3]
	s_waitcnt lgkmcnt(0)
	v_lshl_add_u64 v[10:11], v[10:11], 0, v[2:3]
	ds_write_b64 v0, v[10:11]
	v_lshl_add_u64 v[10:11], v[12:13], 0, v[2:3]
	v_lshl_add_u64 v[2:3], v[14:15], 0, v[2:3]
	v_cmp_ne_u64_e32 vcc, 0, v[14:15]
	ds_write_b64 v0, v[10:11]
	s_nop 0
	v_cndmask_b32_e32 v3, 0, v3, vcc
	v_cndmask_b32_e32 v2, 0, v2, vcc
	ds_write_b64 v0, v[2:3]
.LBB2_311:                              ;   in Loop: Header=BB2_308 Depth=1
	s_or_b64 exec, exec, s[14:15]
	v_and_b32_e32 v2, 4, v62
	v_cmp_ne_u32_e32 vcc, 0, v2
	s_mov_b64 s[36:37], -1
	s_waitcnt lgkmcnt(0)
	v_lshl_add_u64 v[10:11], v[8:9], 0, 1
	s_and_saveexec_b64 s[14:15], vcc
	s_cbranch_execnz .LBB2_314
; %bb.312:                              ;   in Loop: Header=BB2_308 Depth=1
	s_or_b64 exec, exec, s[14:15]
	s_xor_b64 s[14:15], s[36:37], -1
	s_and_saveexec_b64 s[36:37], s[14:15]
	s_cbranch_execnz .LBB2_325
.LBB2_313:                              ;   in Loop: Header=BB2_308 Depth=1
	s_or_b64 exec, exec, s[36:37]
	s_and_saveexec_b64 s[14:15], s[4:5]
	s_cbranch_execnz .LBB2_334
	s_branch .LBB2_352
.LBB2_314:                              ;   in Loop: Header=BB2_308 Depth=1
	v_lshl_add_u64 v[12:13], v[8:9], 0, 1
	v_cmp_lt_u64_e32 vcc, v[28:29], v[12:13]
	v_mov_b32_e32 v2, 1
	s_and_saveexec_b64 s[36:37], vcc
	s_cbranch_execz .LBB2_324
; %bb.315:                              ;   in Loop: Header=BB2_308 Depth=1
	s_mov_b64 s[38:39], 0
	v_mov_b32_e32 v2, 0
                                        ; implicit-def: $sgpr40_sgpr41
	s_branch .LBB2_319
.LBB2_316:                              ;   in Loop: Header=BB2_319 Depth=2
	s_or_b64 exec, exec, s[48:49]
	v_mov_b32_e32 v3, 0
	s_orn2_b64 s[46:47], s[46:47], exec
.LBB2_317:                              ;   in Loop: Header=BB2_319 Depth=2
	s_or_b64 exec, exec, s[44:45]
	s_andn2_b64 vcc, s[40:41], exec
	s_and_b64 s[40:41], s[46:47], exec
	s_or_b64 s[40:41], vcc, s[40:41]
	v_mov_b32_e32 v2, v3
.LBB2_318:                              ;   in Loop: Header=BB2_319 Depth=2
	s_or_b64 exec, exec, s[42:43]
	s_waitcnt vmcnt(0) lgkmcnt(0)
	v_cmp_ge_u64_e32 vcc, v[28:29], v[12:13]
	s_xor_b64 s[42:43], s[40:41], -1
	s_or_b64 vcc, s[42:43], vcc
	s_and_b64 vcc, exec, vcc
	s_or_b64 s[38:39], vcc, s[38:39]
	s_andn2_b64 exec, exec, s[38:39]
	s_cbranch_execz .LBB2_323
.LBB2_319:                              ;   Parent Loop BB2_308 Depth=1
                                        ; =>  This Inner Loop Header: Depth=2
	s_sleep 1
	flat_load_dwordx2 v[28:29], v[24:25] sc0 sc1
	v_and_b32_e32 v3, 64, v62
	v_cmp_eq_u32_e32 vcc, 0, v3
	s_andn2_b64 s[40:41], s[40:41], exec
	s_and_saveexec_b64 s[42:43], vcc
	s_cbranch_execz .LBB2_318
; %bb.320:                              ;   in Loop: Header=BB2_319 Depth=2
	v_add_u32_e32 v3, 1, v2
	v_cmp_lt_i32_e32 vcc, s55, v2
	s_mov_b64 s[46:47], -1
	s_and_saveexec_b64 s[44:45], vcc
	s_cbranch_execz .LBB2_317
; %bb.321:                              ;   in Loop: Header=BB2_319 Depth=2
	s_trap 2
	ds_read_b64 v[2:3], v0
	s_waitcnt vmcnt(0) lgkmcnt(0)
	flat_load_dword v2, v[2:3] sc0 sc1
	s_waitcnt vmcnt(0) lgkmcnt(0)
	buffer_inv sc0 sc1
	v_cmp_ne_u32_e32 vcc, 0, v2
	s_and_saveexec_b64 s[48:49], vcc
	s_cbranch_execz .LBB2_316
; %bb.322:                              ;   in Loop: Header=BB2_319 Depth=2
	v_or_b32_e32 v62, 64, v62
	s_xor_b64 s[46:47], exec, -1
	ds_write_b32 v0, v2
	s_trap 2
	s_branch .LBB2_316
.LBB2_323:                              ;   in Loop: Header=BB2_308 Depth=1
	s_or_b64 exec, exec, s[38:39]
	v_and_b32_e32 v2, 4, v62
.LBB2_324:                              ;   in Loop: Header=BB2_308 Depth=1
	s_or_b64 exec, exec, s[36:37]
	v_cmp_eq_u32_e32 vcc, 0, v2
	s_orn2_b64 s[36:37], vcc, exec
	;;#ASMSTART
	s_wakeup
	;;#ASMEND
	s_or_b64 exec, exec, s[14:15]
	s_xor_b64 s[14:15], s[36:37], -1
	s_and_saveexec_b64 s[36:37], s[14:15]
	s_cbranch_execz .LBB2_313
.LBB2_325:                              ;   in Loop: Header=BB2_308 Depth=1
	v_and_b32_e32 v2, 0x100, v62
	v_cmp_ne_u32_e32 vcc, 0, v2
	v_and_b32_e32 v2, 7, v8
	s_mov_b64 s[14:15], -1
                                        ; implicit-def: $vgpr8_vgpr9
	s_and_saveexec_b64 s[38:39], vcc
	s_cbranch_execz .LBB2_329
; %bb.326:                              ;   in Loop: Header=BB2_308 Depth=1
	v_mad_u64_u32 v[12:13], s[14:15], v2, 24, v[6:7]
	flat_load_dword v3, v[12:13]
                                        ; implicit-def: $vgpr8_vgpr9
	s_waitcnt vmcnt(0) lgkmcnt(0)
	v_cmp_ne_u32_e32 vcc, 1, v3
	v_cmp_eq_u32_e64 s[14:15], 1, v3
	s_and_saveexec_b64 s[40:41], s[14:15]
	s_cbranch_execz .LBB2_328
; %bb.327:                              ;   in Loop: Header=BB2_308 Depth=1
	flat_load_dword v8, v[12:13] offset:4 sc0 sc1
	s_waitcnt vmcnt(0) lgkmcnt(0)
	v_ashrrev_i32_e32 v9, 31, v8
	v_lshrrev_b64 v[8:9], 1, v[8:9]
.LBB2_328:                              ;   in Loop: Header=BB2_308 Depth=1
	s_or_b64 exec, exec, s[40:41]
	s_orn2_b64 s[14:15], vcc, exec
.LBB2_329:                              ;   in Loop: Header=BB2_308 Depth=1
	s_or_b64 exec, exec, s[38:39]
	s_and_saveexec_b64 vcc, s[14:15]
; %bb.330:                              ;   in Loop: Header=BB2_308 Depth=1
	v_accvgpr_read_b32 v8, a6
	v_mad_i64_i32 v[8:9], s[14:15], v2, v8, 0
; %bb.331:                              ;   in Loop: Header=BB2_308 Depth=1
	s_or_b64 exec, exec, vcc
	v_lshl_add_u64 v[2:3], v[8:9], 1, v[26:27]
	ds_write_b64 v0, v[2:3] offset:728
	v_and_b32_e32 v2, 0x2000, v62
	v_cmp_ne_u32_e32 vcc, 0, v2
	s_and_saveexec_b64 s[14:15], vcc
	s_cbranch_execz .LBB2_333
; %bb.332:                              ;   in Loop: Header=BB2_308 Depth=1
	ds_read_b64 v[2:3], v0 offset:584
	s_waitcnt lgkmcnt(0)
	v_lshl_add_u64 v[2:3], v[2:3], 0, 1
	ds_write_b64 v0, v[2:3] offset:584
.LBB2_333:                              ;   in Loop: Header=BB2_308 Depth=1
	s_or_b64 exec, exec, s[14:15]
	v_mov_b64_e32 v[8:9], v[10:11]
	s_or_b64 exec, exec, s[36:37]
	s_and_saveexec_b64 s[14:15], s[4:5]
	s_cbranch_execz .LBB2_352
.LBB2_334:                              ;   in Loop: Header=BB2_308 Depth=1
	s_and_saveexec_b64 vcc, s[24:25]
	s_xor_b64 s[36:37], exec, vcc
	s_cbranch_execz .LBB2_349
; %bb.335:                              ;   in Loop: Header=BB2_308 Depth=1
	s_and_saveexec_b64 s[38:39], s[6:7]
	s_cbranch_execz .LBB2_348
; %bb.336:                              ;   in Loop: Header=BB2_308 Depth=1
	s_mov_b64 s[42:43], exec
	v_mbcnt_lo_u32_b32 v2, s42, 0
	v_mbcnt_hi_u32_b32 v2, s43, v2
	v_cmp_eq_u32_e32 vcc, 0, v2
	s_waitcnt lgkmcnt(0)
	s_and_saveexec_b64 s[40:41], vcc
	s_cbranch_execz .LBB2_338
; %bb.337:                              ;   in Loop: Header=BB2_308 Depth=1
	s_bcnt1_i32_b64 vcc_lo, s[42:43]
	v_mov_b32_e32 v38, vcc_lo
	ds_add_u64 v0, v[38:39]
	s_trap 2
.LBB2_338:                              ;   in Loop: Header=BB2_308 Depth=1
	s_or_b64 exec, exec, s[40:41]
	s_trap 2
	ds_read_b64 v[2:3], v0
	v_lshl_add_u64 v[32:33], v[32:33], 0, v[36:37]
	s_waitcnt lgkmcnt(0)
	v_cmp_lt_u64_e32 vcc, v[2:3], v[32:33]
	s_and_saveexec_b64 s[40:41], vcc
	s_cbranch_execz .LBB2_347
; %bb.339:                              ;   in Loop: Header=BB2_308 Depth=1
	s_mov_b32 s52, 0
	s_mov_b64 s[42:43], 0
                                        ; implicit-def: $sgpr44_sgpr45
                                        ; implicit-def: $sgpr46_sgpr47
	s_branch .LBB2_341
.LBB2_340:                              ;   in Loop: Header=BB2_341 Depth=2
	s_or_b64 exec, exec, s[50:51]
	s_and_b64 vcc, exec, vcc
	s_or_b64 s[42:43], vcc, s[42:43]
	s_andn2_b64 vcc, s[44:45], exec
	s_and_b64 s[44:45], s[46:47], exec
	s_or_b64 s[44:45], vcc, s[44:45]
	s_andn2_b64 exec, exec, s[42:43]
	s_cbranch_execz .LBB2_345
.LBB2_341:                              ;   Parent Loop BB2_308 Depth=1
                                        ; =>  This Inner Loop Header: Depth=2
	s_add_i32 s52, s52, 1
	s_cmpk_lg_i32 s52, 0x2710
	s_cselect_b64 s[48:49], -1, 0
	s_and_b64 vcc, exec, s[48:49]
                                        ; implicit-def: $sgpr50_sgpr51
	s_cbranch_vccnz .LBB2_343
; %bb.342:                              ;   in Loop: Header=BB2_341 Depth=2
	s_trap 2
	ds_read_b64 v[2:3], v0
	s_andn2_b64 s[48:49], s[48:49], exec
	s_mov_b32 s52, 0
	s_mov_b64 s[50:51], -1
	s_waitcnt vmcnt(0) lgkmcnt(0)
	flat_load_dword v2, v[2:3] sc0 sc1
	s_waitcnt vmcnt(0) lgkmcnt(0)
	buffer_inv sc0 sc1
	v_cmp_eq_u32_e32 vcc, 0, v2
	s_and_b64 vcc, vcc, exec
	s_or_b64 s[48:49], s[48:49], vcc
.LBB2_343:                              ;   in Loop: Header=BB2_341 Depth=2
	s_andn2_b64 s[46:47], s[46:47], exec
	s_and_b64 s[50:51], s[50:51], exec
	s_mov_b64 vcc, -1
	s_or_b64 s[46:47], s[46:47], s[50:51]
	s_and_saveexec_b64 s[50:51], s[48:49]
	s_cbranch_execz .LBB2_340
; %bb.344:                              ;   in Loop: Header=BB2_341 Depth=2
	s_sleep 1
	s_trap 2
	ds_read_b64 v[2:3], v0
	s_andn2_b64 s[46:47], s[46:47], exec
	s_waitcnt lgkmcnt(0)
	v_cmp_ge_u64_e32 vcc, v[2:3], v[32:33]
	s_orn2_b64 vcc, vcc, exec
	s_branch .LBB2_340
.LBB2_345:                              ;   in Loop: Header=BB2_308 Depth=1
	s_or_b64 exec, exec, s[42:43]
	s_and_saveexec_b64 vcc, s[44:45]
	s_xor_b64 vcc, exec, vcc
	s_cbranch_execz .LBB2_347
; %bb.346:                              ;   in Loop: Header=BB2_308 Depth=1
	v_mov_b32_e32 v2, 1
	ds_write_b32 v0, v2
	s_trap 2
.LBB2_347:                              ;   in Loop: Header=BB2_308 Depth=1
	s_or_b64 exec, exec, s[40:41]
	;;#ASMSTART
	s_wakeup
	;;#ASMEND
.LBB2_348:                              ;   in Loop: Header=BB2_308 Depth=1
	s_or_b64 exec, exec, s[38:39]
.LBB2_349:                              ;   in Loop: Header=BB2_308 Depth=1
	s_andn2_saveexec_b64 vcc, s[36:37]
	s_cbranch_execz .LBB2_351
; %bb.350:                              ;   in Loop: Header=BB2_308 Depth=1
	s_waitcnt lgkmcnt(0)
	s_barrier
.LBB2_351:                              ;   in Loop: Header=BB2_308 Depth=1
	s_or_b64 exec, exec, vcc
.LBB2_352:                              ;   in Loop: Header=BB2_308 Depth=1
	s_or_b64 exec, exec, s[14:15]
	s_trap 2
	ds_read_b32 v3, v0
	v_and_b32_e32 v2, 0x4000, v62
	v_cmp_ne_u32_e32 vcc, 0, v2
	s_and_b64 vcc, s[28:29], vcc
	s_and_saveexec_b64 s[14:15], vcc
	s_cbranch_execz .LBB2_371
; %bb.353:                              ;   in Loop: Header=BB2_308 Depth=1
	s_and_saveexec_b64 vcc, s[24:25]
	s_xor_b64 s[36:37], exec, vcc
	s_cbranch_execz .LBB2_368
; %bb.354:                              ;   in Loop: Header=BB2_308 Depth=1
	s_and_saveexec_b64 s[38:39], s[6:7]
	s_cbranch_execz .LBB2_367
; %bb.355:                              ;   in Loop: Header=BB2_308 Depth=1
	s_mov_b64 s[42:43], exec
	v_mbcnt_lo_u32_b32 v2, s42, 0
	v_mbcnt_hi_u32_b32 v2, s43, v2
	v_cmp_eq_u32_e32 vcc, 0, v2
	s_waitcnt lgkmcnt(0)
	s_and_saveexec_b64 s[40:41], vcc
	s_cbranch_execz .LBB2_357
; %bb.356:                              ;   in Loop: Header=BB2_308 Depth=1
	s_bcnt1_i32_b64 vcc_lo, s[42:43]
	v_mov_b32_e32 v38, vcc_lo
	ds_add_u64 v0, v[38:39]
	s_trap 2
.LBB2_357:                              ;   in Loop: Header=BB2_308 Depth=1
	s_or_b64 exec, exec, s[40:41]
	s_trap 2
	ds_read_b64 v[10:11], v0
	v_lshl_add_u64 v[32:33], v[32:33], 0, v[36:37]
	s_waitcnt lgkmcnt(0)
	v_cmp_lt_u64_e32 vcc, v[10:11], v[32:33]
	s_and_saveexec_b64 s[40:41], vcc
	s_cbranch_execz .LBB2_366
; %bb.358:                              ;   in Loop: Header=BB2_308 Depth=1
	s_mov_b32 s52, 0
	s_mov_b64 s[42:43], 0
                                        ; implicit-def: $sgpr44_sgpr45
                                        ; implicit-def: $sgpr46_sgpr47
	s_branch .LBB2_360
.LBB2_359:                              ;   in Loop: Header=BB2_360 Depth=2
	s_or_b64 exec, exec, s[50:51]
	s_and_b64 vcc, exec, vcc
	s_or_b64 s[42:43], vcc, s[42:43]
	s_andn2_b64 vcc, s[44:45], exec
	s_and_b64 s[44:45], s[46:47], exec
	s_or_b64 s[44:45], vcc, s[44:45]
	s_andn2_b64 exec, exec, s[42:43]
	s_cbranch_execz .LBB2_364
.LBB2_360:                              ;   Parent Loop BB2_308 Depth=1
                                        ; =>  This Inner Loop Header: Depth=2
	s_add_i32 s52, s52, 1
	s_cmpk_lg_i32 s52, 0x2710
	s_cselect_b64 s[48:49], -1, 0
	s_and_b64 vcc, exec, s[48:49]
                                        ; implicit-def: $sgpr50_sgpr51
	s_cbranch_vccnz .LBB2_362
; %bb.361:                              ;   in Loop: Header=BB2_360 Depth=2
	s_trap 2
	ds_read_b64 v[10:11], v0
	s_andn2_b64 s[48:49], s[48:49], exec
	s_mov_b32 s52, 0
	s_mov_b64 s[50:51], -1
	s_waitcnt vmcnt(0) lgkmcnt(0)
	flat_load_dword v2, v[10:11] sc0 sc1
	s_waitcnt vmcnt(0) lgkmcnt(0)
	buffer_inv sc0 sc1
	v_cmp_eq_u32_e32 vcc, 0, v2
	s_and_b64 vcc, vcc, exec
	s_or_b64 s[48:49], s[48:49], vcc
.LBB2_362:                              ;   in Loop: Header=BB2_360 Depth=2
	s_andn2_b64 s[46:47], s[46:47], exec
	s_and_b64 s[50:51], s[50:51], exec
	s_mov_b64 vcc, -1
	s_or_b64 s[46:47], s[46:47], s[50:51]
	s_and_saveexec_b64 s[50:51], s[48:49]
	s_cbranch_execz .LBB2_359
; %bb.363:                              ;   in Loop: Header=BB2_360 Depth=2
	s_sleep 1
	s_trap 2
	ds_read_b64 v[10:11], v0
	s_andn2_b64 s[46:47], s[46:47], exec
	s_waitcnt lgkmcnt(0)
	v_cmp_ge_u64_e32 vcc, v[10:11], v[32:33]
	s_orn2_b64 vcc, vcc, exec
	s_branch .LBB2_359
.LBB2_364:                              ;   in Loop: Header=BB2_308 Depth=1
	s_or_b64 exec, exec, s[42:43]
	s_and_saveexec_b64 vcc, s[44:45]
	s_xor_b64 vcc, exec, vcc
	s_cbranch_execz .LBB2_366
; %bb.365:                              ;   in Loop: Header=BB2_308 Depth=1
	v_mov_b32_e32 v2, 1
	ds_write_b32 v0, v2
	s_trap 2
.LBB2_366:                              ;   in Loop: Header=BB2_308 Depth=1
	s_or_b64 exec, exec, s[40:41]
	;;#ASMSTART
	s_wakeup
	;;#ASMEND
.LBB2_367:                              ;   in Loop: Header=BB2_308 Depth=1
	s_or_b64 exec, exec, s[38:39]
.LBB2_368:                              ;   in Loop: Header=BB2_308 Depth=1
	s_andn2_saveexec_b64 vcc, s[36:37]
	s_cbranch_execz .LBB2_370
; %bb.369:                              ;   in Loop: Header=BB2_308 Depth=1
	s_waitcnt lgkmcnt(0)
	s_barrier
.LBB2_370:                              ;   in Loop: Header=BB2_308 Depth=1
	s_or_b64 exec, exec, vcc
.LBB2_371:                              ;   in Loop: Header=BB2_308 Depth=1
	s_or_b64 exec, exec, s[14:15]
	s_trap 2
	ds_read_b64 v[10:11], v0
	v_min_u32_e32 v61, v61, v42
	s_waitcnt lgkmcnt(0)
	v_readfirstlane_b32 s14, v10
	v_readfirstlane_b32 s15, v11
	s_cmp_eq_u64 s[14:15], 0
	s_cselect_b64 s[14:15], -1, 0
	s_or_b64 vcc, s[14:15], s[14:15]
	s_mov_b64 s[14:15], 0
	s_and_b64 vcc, exec, vcc
	s_cbranch_vccnz .LBB2_482
; %bb.372:                              ;   in Loop: Header=BB2_308 Depth=1
	s_mov_b64 s[14:15], -1
	s_and_saveexec_b64 s[36:37], s[10:11]
	s_cbranch_execz .LBB2_374
; %bb.373:                              ;   in Loop: Header=BB2_308 Depth=1
	ds_read_b32 v2, v0 offset:720
	s_waitcnt lgkmcnt(0)
	v_and_b32_e32 v2, 15, v2
	v_cmp_eq_u32_e32 vcc, 0, v2
	s_orn2_b64 s[14:15], vcc, exec
.LBB2_374:                              ;   in Loop: Header=BB2_308 Depth=1
	s_or_b64 exec, exec, s[36:37]
	s_and_saveexec_b64 s[36:37], s[12:13]
	s_cbranch_execz .LBB2_376
; %bb.375:                              ;   in Loop: Header=BB2_308 Depth=1
	ds_read_b32 v2, v0 offset:784
	s_waitcnt lgkmcnt(0)
	v_and_b32_e32 v2, 15, v2
	v_cmp_eq_u32_e32 vcc, 0, v2
	s_and_b64 vcc, s[14:15], vcc
	s_andn2_b64 s[14:15], s[14:15], exec
	s_and_b64 vcc, vcc, exec
	s_or_b64 s[14:15], s[14:15], vcc
.LBB2_376:                              ;   in Loop: Header=BB2_308 Depth=1
	s_or_b64 exec, exec, s[36:37]
	v_cmp_eq_u32_e32 vcc, 0, v3
	s_xor_b64 s[14:15], s[14:15], -1
	v_cndmask_b32_e64 v3, 0, 1, s[14:15]
	v_cndmask_b32_e32 v38, 0, v61, vcc
	v_mov_b32_e32 v2, 0
	v_lshlrev_b32_e32 v43, 1, v38
	s_mov_b64 s[38:39], -1
	;;#ASMSTART
	;;#ASMEND
	s_nop 0
	v_cmp_ne_u32_e32 vcc, 0, v3
	s_cbranch_vccz .LBB2_378
; %bb.377:                              ;   in Loop: Header=BB2_308 Depth=1
	v_mov_b32_e32 v3, v0
	s_and_saveexec_b64 s[14:15], s[38:39]
	s_cbranch_execnz .LBB2_453
	s_branch .LBB2_481
.LBB2_378:                              ;   in Loop: Header=BB2_308 Depth=1
	v_accvgpr_read_b32 v2, a8
	v_accvgpr_read_b32 v3, a9
	v_lshrrev_b32_e32 v3, 9, v38
	v_lshlrev_b32_e32 v20, 10, v3
	v_sub_u32_e32 v48, v43, v20
	v_cmp_lt_i32_e32 vcc, 15, v48
	v_accvgpr_read_b32 v10, a7
	v_sub_u32_e32 v2, v43, v2
	v_addc_co_u32_e64 v31, s[14:15], v3, v10, vcc
	v_cmp_lt_i32_e64 s[14:15], 15, v2
	s_and_saveexec_b64 s[36:37], s[14:15]
	s_cbranch_execz .LBB2_414
; %bb.379:                              ;   in Loop: Header=BB2_308 Depth=1
	s_trap 2
	ds_read_b128 v[10:13], v0
	ds_read_b64 v[14:15], v0
	v_accvgpr_read_b32 v17, a9
	v_accvgpr_read_b32 v16, a8
	s_mov_b64 s[38:39], 0
	s_waitcnt lgkmcnt(0)
	v_lshl_add_u64 v[44:45], v[10:11], 0, v[16:17]
	v_lshl_add_u64 v[46:47], v[12:13], 0, v[16:17]
	;; [unrolled: 1-line block ×3, first 2 shown]
	s_branch .LBB2_381
.LBB2_380:                              ;   in Loop: Header=BB2_381 Depth=2
	s_or_b64 exec, exec, s[40:41]
	v_lshrrev_b32_e32 v10, 16, v49
	v_lshrrev_b32_e32 v13, 16, v58
	v_and_or_b32 v11, v15, s59, v10
	v_lshrrev_b32_e32 v10, 16, v21
	v_and_or_b32 v12, v12, s59, v13
	v_lshrrev_b32_e32 v13, 16, v16
	v_sub_u32_e32 v2, v2, v30
	v_and_or_b32 v10, v14, s59, v10
	v_and_or_b32 v13, v3, s59, v13
	v_cmp_gt_i32_e64 s[14:15], 16, v2
	global_store_dwordx4 v[56:57], v[10:13], off nt
	v_lshl_add_u64 v[44:45], v[44:45], 0, v[50:51]
	v_lshl_add_u64 v[46:47], v[46:47], 0, v[50:51]
	;; [unrolled: 1-line block ×3, first 2 shown]
	s_or_b64 s[38:39], s[14:15], s[38:39]
	v_sub_u32_e32 v31, v31, v36
	s_andn2_b64 exec, exec, s[38:39]
	s_cbranch_execz .LBB2_413
.LBB2_381:                              ;   Parent Loop BB2_308 Depth=1
                                        ; =>  This Inner Loop Header: Depth=2
	global_load_dwordx4 v[10:13], v[46:47], off nt
	global_load_dwordx4 v[14:17], v[44:45], off nt
                                        ; implicit-def: $vgpr21
	s_waitcnt vmcnt(0)
	v_lshlrev_b32_e32 v58, 16, v10
	v_lshlrev_b32_e32 v22, 16, v14
	v_pk_mul_f32 v[58:59], v[58:59], v[22:23] op_sel_hi:[0,1]
	v_and_b32_e32 v3, 0x7f800000, v58
	v_cmp_ne_u32_e64 s[14:15], s56, v3
	s_and_saveexec_b64 s[40:41], s[14:15]
	s_xor_b64 s[14:15], exec, s[40:41]
; %bb.382:                              ;   in Loop: Header=BB2_381 Depth=2
	v_bfe_u32 v3, v58, 16, 1
	v_add3_u32 v21, v58, v3, s57
                                        ; implicit-def: $vgpr58_vgpr59
; %bb.383:                              ;   in Loop: Header=BB2_381 Depth=2
	s_andn2_saveexec_b64 s[40:41], s[14:15]
; %bb.384:                              ;   in Loop: Header=BB2_381 Depth=2
	v_or_b32_e32 v3, 0x10000, v58
	v_cmp_eq_u32_sdwa s[14:15], v58, v39 src0_sel:WORD_0 src1_sel:DWORD
	s_nop 1
	v_cndmask_b32_e64 v21, v3, v58, s[14:15]
; %bb.385:                              ;   in Loop: Header=BB2_381 Depth=2
	s_or_b64 exec, exec, s[40:41]
	v_and_b32_e32 v10, 0xffff0000, v10
	v_and_b32_e32 v14, 0xffff0000, v14
	v_pk_mul_f32 v[58:59], v[10:11], v[14:15] op_sel_hi:[0,1]
	v_and_b32_e32 v3, 0x7f800000, v58
	v_cmp_ne_u32_e64 s[14:15], s56, v3
                                        ; implicit-def: $vgpr14
	s_and_saveexec_b64 s[40:41], s[14:15]
	s_xor_b64 s[14:15], exec, s[40:41]
; %bb.386:                              ;   in Loop: Header=BB2_381 Depth=2
	v_bfe_u32 v3, v58, 16, 1
	v_add3_u32 v14, v58, v3, s57
                                        ; implicit-def: $vgpr58_vgpr59
; %bb.387:                              ;   in Loop: Header=BB2_381 Depth=2
	s_andn2_saveexec_b64 s[40:41], s[14:15]
; %bb.388:                              ;   in Loop: Header=BB2_381 Depth=2
	v_or_b32_e32 v3, 0x10000, v58
	v_cmp_eq_u32_sdwa s[14:15], v58, v39 src0_sel:WORD_0 src1_sel:DWORD
	s_nop 1
	v_cndmask_b32_e64 v14, v3, v58, s[14:15]
; %bb.389:                              ;   in Loop: Header=BB2_381 Depth=2
	s_or_b64 exec, exec, s[40:41]
	v_mov_b32_e32 v3, v11
	v_lshlrev_b32_e32 v10, 16, v3
	v_lshlrev_b32_e32 v22, 16, v15
	v_pk_mul_f32 v[10:11], v[10:11], v[22:23] op_sel_hi:[0,1]
	v_and_b32_e32 v11, 0x7f800000, v10
	v_cmp_ne_u32_e64 s[14:15], s56, v11
                                        ; implicit-def: $vgpr49
	s_and_saveexec_b64 s[40:41], s[14:15]
	s_xor_b64 s[14:15], exec, s[40:41]
; %bb.390:                              ;   in Loop: Header=BB2_381 Depth=2
	v_bfe_u32 v11, v10, 16, 1
	v_add3_u32 v49, v10, v11, s57
                                        ; implicit-def: $vgpr10_vgpr11
; %bb.391:                              ;   in Loop: Header=BB2_381 Depth=2
	s_andn2_saveexec_b64 s[40:41], s[14:15]
; %bb.392:                              ;   in Loop: Header=BB2_381 Depth=2
	v_or_b32_e32 v11, 0x10000, v10
	v_cmp_eq_u32_sdwa s[14:15], v10, v39 src0_sel:WORD_0 src1_sel:DWORD
	s_nop 1
	v_cndmask_b32_e64 v49, v11, v10, s[14:15]
; %bb.393:                              ;   in Loop: Header=BB2_381 Depth=2
	s_or_b64 exec, exec, s[40:41]
	v_and_b32_e32 v10, 0xffff0000, v3
	v_and_b32_e32 v22, 0xffff0000, v15
	v_pk_mul_f32 v[10:11], v[10:11], v[22:23] op_sel_hi:[0,1]
	v_and_b32_e32 v3, 0x7f800000, v10
	v_cmp_ne_u32_e64 s[14:15], s56, v3
                                        ; implicit-def: $vgpr15
	s_and_saveexec_b64 s[40:41], s[14:15]
	s_xor_b64 s[14:15], exec, s[40:41]
; %bb.394:                              ;   in Loop: Header=BB2_381 Depth=2
	v_bfe_u32 v3, v10, 16, 1
	v_add3_u32 v15, v10, v3, s57
                                        ; implicit-def: $vgpr10_vgpr11
; %bb.395:                              ;   in Loop: Header=BB2_381 Depth=2
	s_andn2_saveexec_b64 s[40:41], s[14:15]
; %bb.396:                              ;   in Loop: Header=BB2_381 Depth=2
	v_or_b32_e32 v3, 0x10000, v10
	v_cmp_eq_u32_sdwa s[14:15], v10, v39 src0_sel:WORD_0 src1_sel:DWORD
	s_nop 1
	v_cndmask_b32_e64 v15, v3, v10, s[14:15]
; %bb.397:                              ;   in Loop: Header=BB2_381 Depth=2
	s_or_b64 exec, exec, s[40:41]
	v_lshlrev_b32_e32 v10, 16, v12
	v_lshlrev_b32_e32 v22, 16, v16
	v_pk_mul_f32 v[10:11], v[10:11], v[22:23] op_sel_hi:[0,1]
	v_and_b32_e32 v3, 0x7f800000, v10
	v_cmp_ne_u32_e64 s[14:15], s56, v3
                                        ; implicit-def: $vgpr58
	s_and_saveexec_b64 s[40:41], s[14:15]
	s_xor_b64 s[14:15], exec, s[40:41]
; %bb.398:                              ;   in Loop: Header=BB2_381 Depth=2
	v_bfe_u32 v3, v10, 16, 1
	v_add3_u32 v58, v10, v3, s57
                                        ; implicit-def: $vgpr10_vgpr11
; %bb.399:                              ;   in Loop: Header=BB2_381 Depth=2
	s_andn2_saveexec_b64 s[40:41], s[14:15]
; %bb.400:                              ;   in Loop: Header=BB2_381 Depth=2
	v_or_b32_e32 v3, 0x10000, v10
	v_cmp_eq_u32_sdwa s[14:15], v10, v39 src0_sel:WORD_0 src1_sel:DWORD
	s_nop 1
	v_cndmask_b32_e64 v58, v3, v10, s[14:15]
; %bb.401:                              ;   in Loop: Header=BB2_381 Depth=2
	s_or_b64 exec, exec, s[40:41]
	v_and_b32_e32 v10, 0xffff0000, v12
	v_and_b32_e32 v12, 0xffff0000, v16
	v_pk_mul_f32 v[10:11], v[10:11], v[12:13] op_sel_hi:[0,1]
	v_and_b32_e32 v3, 0x7f800000, v10
	v_cmp_ne_u32_e64 s[14:15], s56, v3
                                        ; implicit-def: $vgpr12
	s_and_saveexec_b64 s[40:41], s[14:15]
	s_xor_b64 s[14:15], exec, s[40:41]
; %bb.402:                              ;   in Loop: Header=BB2_381 Depth=2
	v_bfe_u32 v3, v10, 16, 1
	v_add3_u32 v12, v10, v3, s57
                                        ; implicit-def: $vgpr10_vgpr11
; %bb.403:                              ;   in Loop: Header=BB2_381 Depth=2
	s_andn2_saveexec_b64 s[40:41], s[14:15]
; %bb.404:                              ;   in Loop: Header=BB2_381 Depth=2
	v_or_b32_e32 v3, 0x10000, v10
	v_cmp_eq_u32_sdwa s[14:15], v10, v39 src0_sel:WORD_0 src1_sel:DWORD
	s_nop 1
	v_cndmask_b32_e64 v12, v3, v10, s[14:15]
; %bb.405:                              ;   in Loop: Header=BB2_381 Depth=2
	s_or_b64 exec, exec, s[40:41]
	v_mov_b32_e32 v3, v17
	v_lshlrev_b32_e32 v10, 16, v13
	v_lshlrev_b32_e32 v16, 16, v3
	v_pk_mul_f32 v[10:11], v[10:11], v[16:17] op_sel_hi:[0,1]
	v_and_b32_e32 v11, 0x7f800000, v10
	v_cmp_ne_u32_e64 s[14:15], s56, v11
                                        ; implicit-def: $vgpr16
	s_and_saveexec_b64 s[40:41], s[14:15]
	s_xor_b64 s[14:15], exec, s[40:41]
; %bb.406:                              ;   in Loop: Header=BB2_381 Depth=2
	v_bfe_u32 v11, v10, 16, 1
	v_add3_u32 v16, v10, v11, s57
                                        ; implicit-def: $vgpr10_vgpr11
; %bb.407:                              ;   in Loop: Header=BB2_381 Depth=2
	s_andn2_saveexec_b64 s[40:41], s[14:15]
; %bb.408:                              ;   in Loop: Header=BB2_381 Depth=2
	v_or_b32_e32 v11, 0x10000, v10
	v_cmp_eq_u32_sdwa s[14:15], v10, v39 src0_sel:WORD_0 src1_sel:DWORD
	s_nop 1
	v_cndmask_b32_e64 v16, v11, v10, s[14:15]
; %bb.409:                              ;   in Loop: Header=BB2_381 Depth=2
	s_or_b64 exec, exec, s[40:41]
	v_and_b32_e32 v10, 0xffff0000, v13
	v_and_b32_e32 v22, 0xffff0000, v3
	v_pk_mul_f32 v[10:11], v[10:11], v[22:23] op_sel_hi:[0,1]
	v_and_b32_e32 v3, 0x7f800000, v10
	v_cmp_ne_u32_e64 s[14:15], s56, v3
                                        ; implicit-def: $vgpr3
	s_and_saveexec_b64 s[40:41], s[14:15]
	s_xor_b64 s[14:15], exec, s[40:41]
; %bb.410:                              ;   in Loop: Header=BB2_381 Depth=2
	v_bfe_u32 v3, v10, 16, 1
	v_add3_u32 v3, v10, v3, s57
                                        ; implicit-def: $vgpr10_vgpr11
; %bb.411:                              ;   in Loop: Header=BB2_381 Depth=2
	s_andn2_saveexec_b64 s[40:41], s[14:15]
	s_cbranch_execz .LBB2_380
; %bb.412:                              ;   in Loop: Header=BB2_381 Depth=2
	v_or_b32_e32 v3, 0x10000, v10
	v_cmp_eq_u32_sdwa s[14:15], v10, v39 src0_sel:WORD_0 src1_sel:DWORD
	s_nop 1
	v_cndmask_b32_e64 v3, v3, v10, s[14:15]
	s_branch .LBB2_380
.LBB2_413:                              ;   in Loop: Header=BB2_308 Depth=1
	s_or_b64 exec, exec, s[38:39]
.LBB2_414:                              ;   in Loop: Header=BB2_308 Depth=1
	s_or_b64 exec, exec, s[36:37]
	v_and_b32_e32 v10, 14, v43
	v_cndmask_b32_e32 v21, v48, v10, vcc
	v_cmp_ne_u32_e64 s[14:15], 0, v21
	s_mov_b64 s[38:39], 0
	v_mov_b32_e32 v2, 0
                                        ; implicit-def: $vgpr43
                                        ; implicit-def: $vgpr3
	s_and_saveexec_b64 s[36:37], s[14:15]
	s_cbranch_execz .LBB2_452
; %bb.415:                              ;   in Loop: Header=BB2_308 Depth=1
	v_sub_u32_e32 v2, v48, v10
	v_cndmask_b32_e32 v2, 0, v2, vcc
	v_cmp_lt_i32_e32 vcc, 0, v31
	v_add_u32_e32 v16, v2, v20
	v_accvgpr_read_b32 v3, a1
	v_cndmask_b32_e32 v2, 0, v36, vcc
	v_sub_u32_e32 v2, v2, v31
	v_lshl_add_u32 v2, v2, 6, v3
	v_ashrrev_i32_e32 v3, 31, v2
	v_lshrrev_b32_e32 v3, 26, v3
	v_add_u32_e32 v3, v2, v3
	v_ashrrev_i32_e32 v10, 6, v3
	v_and_b32_e32 v3, 0xffffffc0, v3
	v_sub_u32_e32 v20, v2, v3
	v_lshlrev_b32_e32 v2, 4, v20
	v_lshl_add_u32 v3, v10, 10, v2
	v_ashrrev_i32_e32 v2, 31, v21
	v_lshrrev_b32_e32 v2, 22, v2
	v_add_u32_e32 v2, v21, v2
	v_ashrrev_i32_e32 v11, 10, v2
	v_and_b32_e32 v2, 0xfffffc00, v2
	v_sub_u32_e32 v31, v21, v2
	v_cmp_lt_i32_e32 vcc, 15, v31
	v_sub_u32_e32 v49, v21, v3
	s_nop 0
	v_addc_co_u32_e64 v11, s[14:15], 0, v11, vcc
	v_sub_u32_e32 v48, v11, v10
	v_cmp_lt_i32_e64 s[14:15], 15, v49
	s_and_saveexec_b64 s[38:39], s[14:15]
	s_cbranch_execz .LBB2_451
; %bb.416:                              ;   in Loop: Header=BB2_308 Depth=1
	s_trap 2
	ds_read_b128 v[10:13], v0
	ds_read_b64 v[14:15], v0
	v_accvgpr_write_b32 a10, v16
	v_add_u32_e32 v16, v3, v16
	v_ashrrev_i32_e32 v17, 31, v16
	s_waitcnt lgkmcnt(0)
	v_lshl_add_u64 v[44:45], v[10:11], 0, v[16:17]
	v_lshl_add_u64 v[46:47], v[12:13], 0, v[16:17]
	;; [unrolled: 1-line block ×3, first 2 shown]
	s_mov_b64 s[40:41], 0
	s_branch .LBB2_418
.LBB2_417:                              ;   in Loop: Header=BB2_418 Depth=2
	s_or_b64 exec, exec, s[42:43]
	v_lshrrev_b32_e32 v10, 16, v58
	v_lshrrev_b32_e32 v13, 16, v59
	v_and_or_b32 v11, v15, s59, v10
	v_lshrrev_b32_e32 v10, 16, v43
	v_and_or_b32 v12, v12, s59, v13
	v_lshrrev_b32_e32 v13, 16, v16
	v_sub_u32_e32 v49, v49, v30
	v_and_or_b32 v10, v14, s59, v10
	v_and_or_b32 v13, v3, s59, v13
	v_cmp_gt_i32_e64 s[14:15], 16, v49
	global_store_dwordx4 v[56:57], v[10:13], off nt
	v_lshl_add_u64 v[44:45], v[44:45], 0, v[50:51]
	v_lshl_add_u64 v[46:47], v[46:47], 0, v[50:51]
	;; [unrolled: 1-line block ×3, first 2 shown]
	s_or_b64 s[40:41], s[14:15], s[40:41]
	v_sub_u32_e32 v48, v48, v36
	s_andn2_b64 exec, exec, s[40:41]
	s_cbranch_execz .LBB2_450
.LBB2_418:                              ;   Parent Loop BB2_308 Depth=1
                                        ; =>  This Inner Loop Header: Depth=2
	global_load_dwordx4 v[10:13], v[46:47], off nt
	global_load_dwordx4 v[14:17], v[44:45], off nt
                                        ; implicit-def: $vgpr43
	s_waitcnt vmcnt(0)
	v_lshlrev_b32_e32 v22, 16, v10
	v_lshlrev_b32_e32 v58, 16, v14
	v_pk_mul_f32 v[58:59], v[22:23], v[58:59] op_sel_hi:[0,1]
	v_and_b32_e32 v3, 0x7f800000, v58
	v_cmp_ne_u32_e64 s[14:15], s56, v3
	s_and_saveexec_b64 s[42:43], s[14:15]
	s_xor_b64 s[14:15], exec, s[42:43]
; %bb.419:                              ;   in Loop: Header=BB2_418 Depth=2
	v_bfe_u32 v3, v58, 16, 1
	v_add3_u32 v43, v58, v3, s57
                                        ; implicit-def: $vgpr58_vgpr59
; %bb.420:                              ;   in Loop: Header=BB2_418 Depth=2
	s_andn2_saveexec_b64 s[42:43], s[14:15]
; %bb.421:                              ;   in Loop: Header=BB2_418 Depth=2
	v_or_b32_e32 v3, 0x10000, v58
	v_cmp_eq_u32_sdwa s[14:15], v58, v39 src0_sel:WORD_0 src1_sel:DWORD
	s_nop 1
	v_cndmask_b32_e64 v43, v3, v58, s[14:15]
; %bb.422:                              ;   in Loop: Header=BB2_418 Depth=2
	s_or_b64 exec, exec, s[42:43]
	v_and_b32_e32 v10, 0xffff0000, v10
	v_and_b32_e32 v14, 0xffff0000, v14
	v_pk_mul_f32 v[58:59], v[10:11], v[14:15] op_sel_hi:[0,1]
	v_and_b32_e32 v3, 0x7f800000, v58
	v_cmp_ne_u32_e64 s[14:15], s56, v3
                                        ; implicit-def: $vgpr14
	s_and_saveexec_b64 s[42:43], s[14:15]
	s_xor_b64 s[14:15], exec, s[42:43]
; %bb.423:                              ;   in Loop: Header=BB2_418 Depth=2
	v_bfe_u32 v3, v58, 16, 1
	v_add3_u32 v14, v58, v3, s57
                                        ; implicit-def: $vgpr58_vgpr59
; %bb.424:                              ;   in Loop: Header=BB2_418 Depth=2
	s_andn2_saveexec_b64 s[42:43], s[14:15]
; %bb.425:                              ;   in Loop: Header=BB2_418 Depth=2
	v_or_b32_e32 v3, 0x10000, v58
	v_cmp_eq_u32_sdwa s[14:15], v58, v39 src0_sel:WORD_0 src1_sel:DWORD
	s_nop 1
	v_cndmask_b32_e64 v14, v3, v58, s[14:15]
; %bb.426:                              ;   in Loop: Header=BB2_418 Depth=2
	s_or_b64 exec, exec, s[42:43]
	v_mov_b32_e32 v3, v11
	v_lshlrev_b32_e32 v10, 16, v3
	v_lshlrev_b32_e32 v22, 16, v15
	v_pk_mul_f32 v[10:11], v[10:11], v[22:23] op_sel_hi:[0,1]
	v_and_b32_e32 v11, 0x7f800000, v10
	v_cmp_ne_u32_e64 s[14:15], s56, v11
                                        ; implicit-def: $vgpr58
	s_and_saveexec_b64 s[42:43], s[14:15]
	s_xor_b64 s[14:15], exec, s[42:43]
; %bb.427:                              ;   in Loop: Header=BB2_418 Depth=2
	v_bfe_u32 v11, v10, 16, 1
	v_add3_u32 v58, v10, v11, s57
                                        ; implicit-def: $vgpr10_vgpr11
; %bb.428:                              ;   in Loop: Header=BB2_418 Depth=2
	s_andn2_saveexec_b64 s[42:43], s[14:15]
; %bb.429:                              ;   in Loop: Header=BB2_418 Depth=2
	v_or_b32_e32 v11, 0x10000, v10
	v_cmp_eq_u32_sdwa s[14:15], v10, v39 src0_sel:WORD_0 src1_sel:DWORD
	s_nop 1
	v_cndmask_b32_e64 v58, v11, v10, s[14:15]
; %bb.430:                              ;   in Loop: Header=BB2_418 Depth=2
	s_or_b64 exec, exec, s[42:43]
	v_and_b32_e32 v10, 0xffff0000, v3
	v_and_b32_e32 v22, 0xffff0000, v15
	v_pk_mul_f32 v[10:11], v[10:11], v[22:23] op_sel_hi:[0,1]
	v_and_b32_e32 v3, 0x7f800000, v10
	v_cmp_ne_u32_e64 s[14:15], s56, v3
                                        ; implicit-def: $vgpr15
	s_and_saveexec_b64 s[42:43], s[14:15]
	s_xor_b64 s[14:15], exec, s[42:43]
; %bb.431:                              ;   in Loop: Header=BB2_418 Depth=2
	v_bfe_u32 v3, v10, 16, 1
	v_add3_u32 v15, v10, v3, s57
                                        ; implicit-def: $vgpr10_vgpr11
; %bb.432:                              ;   in Loop: Header=BB2_418 Depth=2
	s_andn2_saveexec_b64 s[42:43], s[14:15]
; %bb.433:                              ;   in Loop: Header=BB2_418 Depth=2
	v_or_b32_e32 v3, 0x10000, v10
	v_cmp_eq_u32_sdwa s[14:15], v10, v39 src0_sel:WORD_0 src1_sel:DWORD
	s_nop 1
	v_cndmask_b32_e64 v15, v3, v10, s[14:15]
; %bb.434:                              ;   in Loop: Header=BB2_418 Depth=2
	s_or_b64 exec, exec, s[42:43]
	v_lshlrev_b32_e32 v10, 16, v12
	v_lshlrev_b32_e32 v22, 16, v16
	v_pk_mul_f32 v[10:11], v[10:11], v[22:23] op_sel_hi:[0,1]
	v_and_b32_e32 v3, 0x7f800000, v10
	v_cmp_ne_u32_e64 s[14:15], s56, v3
                                        ; implicit-def: $vgpr59
	s_and_saveexec_b64 s[42:43], s[14:15]
	s_xor_b64 s[14:15], exec, s[42:43]
; %bb.435:                              ;   in Loop: Header=BB2_418 Depth=2
	v_bfe_u32 v3, v10, 16, 1
	v_add3_u32 v59, v10, v3, s57
                                        ; implicit-def: $vgpr10_vgpr11
; %bb.436:                              ;   in Loop: Header=BB2_418 Depth=2
	s_andn2_saveexec_b64 s[42:43], s[14:15]
; %bb.437:                              ;   in Loop: Header=BB2_418 Depth=2
	v_or_b32_e32 v3, 0x10000, v10
	v_cmp_eq_u32_sdwa s[14:15], v10, v39 src0_sel:WORD_0 src1_sel:DWORD
	s_nop 1
	v_cndmask_b32_e64 v59, v3, v10, s[14:15]
; %bb.438:                              ;   in Loop: Header=BB2_418 Depth=2
	s_or_b64 exec, exec, s[42:43]
	v_and_b32_e32 v10, 0xffff0000, v12
	v_and_b32_e32 v12, 0xffff0000, v16
	v_pk_mul_f32 v[10:11], v[10:11], v[12:13] op_sel_hi:[0,1]
	v_and_b32_e32 v3, 0x7f800000, v10
	v_cmp_ne_u32_e64 s[14:15], s56, v3
                                        ; implicit-def: $vgpr12
	s_and_saveexec_b64 s[42:43], s[14:15]
	s_xor_b64 s[14:15], exec, s[42:43]
; %bb.439:                              ;   in Loop: Header=BB2_418 Depth=2
	v_bfe_u32 v3, v10, 16, 1
	v_add3_u32 v12, v10, v3, s57
                                        ; implicit-def: $vgpr10_vgpr11
; %bb.440:                              ;   in Loop: Header=BB2_418 Depth=2
	s_andn2_saveexec_b64 s[42:43], s[14:15]
; %bb.441:                              ;   in Loop: Header=BB2_418 Depth=2
	v_or_b32_e32 v3, 0x10000, v10
	v_cmp_eq_u32_sdwa s[14:15], v10, v39 src0_sel:WORD_0 src1_sel:DWORD
	s_nop 1
	v_cndmask_b32_e64 v12, v3, v10, s[14:15]
; %bb.442:                              ;   in Loop: Header=BB2_418 Depth=2
	s_or_b64 exec, exec, s[42:43]
	v_mov_b32_e32 v3, v17
	v_lshlrev_b32_e32 v10, 16, v13
	v_lshlrev_b32_e32 v16, 16, v3
	v_pk_mul_f32 v[10:11], v[10:11], v[16:17] op_sel_hi:[0,1]
	v_and_b32_e32 v11, 0x7f800000, v10
	v_cmp_ne_u32_e64 s[14:15], s56, v11
                                        ; implicit-def: $vgpr16
	s_and_saveexec_b64 s[42:43], s[14:15]
	s_xor_b64 s[14:15], exec, s[42:43]
; %bb.443:                              ;   in Loop: Header=BB2_418 Depth=2
	v_bfe_u32 v11, v10, 16, 1
	v_add3_u32 v16, v10, v11, s57
                                        ; implicit-def: $vgpr10_vgpr11
; %bb.444:                              ;   in Loop: Header=BB2_418 Depth=2
	s_andn2_saveexec_b64 s[42:43], s[14:15]
; %bb.445:                              ;   in Loop: Header=BB2_418 Depth=2
	v_or_b32_e32 v11, 0x10000, v10
	v_cmp_eq_u32_sdwa s[14:15], v10, v39 src0_sel:WORD_0 src1_sel:DWORD
	s_nop 1
	v_cndmask_b32_e64 v16, v11, v10, s[14:15]
; %bb.446:                              ;   in Loop: Header=BB2_418 Depth=2
	s_or_b64 exec, exec, s[42:43]
	v_and_b32_e32 v10, 0xffff0000, v13
	v_and_b32_e32 v22, 0xffff0000, v3
	v_pk_mul_f32 v[10:11], v[10:11], v[22:23] op_sel_hi:[0,1]
	v_and_b32_e32 v3, 0x7f800000, v10
	v_cmp_ne_u32_e64 s[14:15], s56, v3
                                        ; implicit-def: $vgpr3
	s_and_saveexec_b64 s[42:43], s[14:15]
	s_xor_b64 s[14:15], exec, s[42:43]
; %bb.447:                              ;   in Loop: Header=BB2_418 Depth=2
	v_bfe_u32 v3, v10, 16, 1
	v_add3_u32 v3, v10, v3, s57
                                        ; implicit-def: $vgpr10_vgpr11
; %bb.448:                              ;   in Loop: Header=BB2_418 Depth=2
	s_andn2_saveexec_b64 s[42:43], s[14:15]
	s_cbranch_execz .LBB2_417
; %bb.449:                              ;   in Loop: Header=BB2_418 Depth=2
	v_or_b32_e32 v3, 0x10000, v10
	v_cmp_eq_u32_sdwa s[14:15], v10, v39 src0_sel:WORD_0 src1_sel:DWORD
	s_nop 1
	v_cndmask_b32_e64 v3, v3, v10, s[14:15]
	s_branch .LBB2_417
.LBB2_450:                              ;   in Loop: Header=BB2_308 Depth=1
	s_or_b64 exec, exec, s[40:41]
	v_accvgpr_read_b32 v16, a10
.LBB2_451:                              ;   in Loop: Header=BB2_308 Depth=1
	s_or_b64 exec, exec, s[38:39]
	v_and_b32_e32 v3, 14, v21
	v_sub_u32_e32 v10, v31, v3
	v_cndmask_b32_e32 v10, 0, v10, vcc
	v_cndmask_b32_e32 v43, v31, v3, vcc
	v_cmp_lt_i32_e32 vcc, 0, v48
	v_add3_u32 v2, v2, v16, v10
	s_nop 0
	v_cndmask_b32_e32 v3, 0, v36, vcc
	v_sub_u32_e32 v3, v3, v48
	v_cmp_ne_u32_e32 vcc, 0, v43
	v_lshl_add_u32 v3, v3, 6, v20
	s_and_b64 s[38:39], vcc, exec
.LBB2_452:                              ;   in Loop: Header=BB2_308 Depth=1
	s_or_b64 exec, exec, s[36:37]
	s_and_saveexec_b64 s[14:15], s[38:39]
	s_cbranch_execz .LBB2_481
.LBB2_453:                              ;   in Loop: Header=BB2_308 Depth=1
	v_ashrrev_i32_e32 v10, 31, v3
	v_ashrrev_i32_e32 v11, 31, v43
	v_lshrrev_b32_e32 v10, 26, v10
	v_lshrrev_b32_e32 v11, 23, v11
	v_add_u32_e32 v10, v3, v10
	v_add_u32_e32 v11, v43, v11
	v_ashrrev_i32_e32 v20, 6, v10
	v_ashrrev_i32_e32 v31, 9, v11
	v_sub_u32_e32 v21, v31, v20
	v_cmp_lt_i32_e32 vcc, 0, v21
	s_and_saveexec_b64 s[36:37], vcc
	s_cbranch_execz .LBB2_473
; %bb.454:                              ;   in Loop: Header=BB2_308 Depth=1
	v_and_b32_e32 v10, 0x7fffffc0, v10
	v_sub_u32_e32 v10, v3, v10
	s_trap 2
	v_lshlrev_b32_e32 v16, 1, v10
	ds_read_b128 v[10:13], v0
	ds_read_b64 v[14:15], v0
	v_lshlrev_b32_e32 v17, 9, v20
	v_add3_u32 v16, v16, v2, v17
	v_ashrrev_i32_e32 v17, 31, v16
	s_waitcnt lgkmcnt(0)
	v_lshl_add_u64 v[10:11], v[10:11], 0, v[16:17]
	v_lshl_add_u64 v[12:13], v[12:13], 0, v[16:17]
	;; [unrolled: 1-line block ×3, first 2 shown]
	s_mov_b64 s[38:39], 0
	s_branch .LBB2_456
.LBB2_455:                              ;   in Loop: Header=BB2_456 Depth=2
	s_or_b64 exec, exec, s[40:41]
	v_sub_u32_e32 v21, v21, v36
	v_cmp_gt_i32_e32 vcc, 1, v21
	flat_store_short_d16_hi v[14:15], v48 nt
	flat_store_short_d16_hi v[14:15], v45 offset:128 nt
	flat_store_short_d16_hi v[14:15], v46 offset:256 nt
	;; [unrolled: 1-line block ×3, first 2 shown]
	v_lshl_add_u64 v[10:11], v[10:11], 0, v[52:53]
	v_lshl_add_u64 v[12:13], v[12:13], 0, v[52:53]
	s_or_b64 s[38:39], vcc, s[38:39]
	v_lshl_add_u64 v[14:15], v[14:15], 0, v[52:53]
	s_andn2_b64 exec, exec, s[38:39]
	s_cbranch_execz .LBB2_472
.LBB2_456:                              ;   Parent Loop BB2_308 Depth=1
                                        ; =>  This Inner Loop Header: Depth=2
	flat_load_ushort v46, v[10:11] offset:256 nt
	flat_load_ushort v49, v[10:11] offset:384 nt
	;; [unrolled: 1-line block ×4, first 2 shown]
	flat_load_ushort v16, v[12:13] nt
	flat_load_ushort v17, v[10:11] nt
	flat_load_ushort v45, v[10:11] offset:128 nt
	flat_load_ushort v56, v[12:13] offset:128 nt
                                        ; implicit-def: $vgpr48
	s_waitcnt vmcnt(0) lgkmcnt(0)
	v_lshlrev_b32_e32 v16, 16, v16
	v_lshlrev_b32_e32 v22, 16, v17
	v_pk_mul_f32 v[16:17], v[16:17], v[22:23] op_sel_hi:[0,1]
	v_and_b32_e32 v17, 0x7f800000, v16
	v_cmp_ne_u32_e32 vcc, s56, v17
	s_and_saveexec_b64 s[40:41], vcc
	s_xor_b64 vcc, exec, s[40:41]
; %bb.457:                              ;   in Loop: Header=BB2_456 Depth=2
	v_bfe_u32 v17, v16, 16, 1
	v_add3_u32 v48, v16, v17, s57
                                        ; implicit-def: $vgpr16_vgpr17
; %bb.458:                              ;   in Loop: Header=BB2_456 Depth=2
	s_andn2_saveexec_b64 s[40:41], vcc
; %bb.459:                              ;   in Loop: Header=BB2_456 Depth=2
	v_or_b32_e32 v17, 0x10000, v16
	v_cmp_eq_u32_sdwa vcc, v16, v39 src0_sel:WORD_0 src1_sel:DWORD
	s_nop 1
	v_cndmask_b32_e32 v48, v17, v16, vcc
; %bb.460:                              ;   in Loop: Header=BB2_456 Depth=2
	s_or_b64 exec, exec, s[40:41]
	v_lshlrev_b32_e32 v16, 16, v56
	v_lshlrev_b32_e32 v22, 16, v45
	v_pk_mul_f32 v[16:17], v[16:17], v[22:23] op_sel_hi:[0,1]
	v_and_b32_e32 v17, 0x7f800000, v16
	v_cmp_ne_u32_e32 vcc, s56, v17
                                        ; implicit-def: $vgpr45
	s_and_saveexec_b64 s[40:41], vcc
	s_xor_b64 vcc, exec, s[40:41]
; %bb.461:                              ;   in Loop: Header=BB2_456 Depth=2
	v_bfe_u32 v17, v16, 16, 1
	v_add3_u32 v45, v16, v17, s57
                                        ; implicit-def: $vgpr16_vgpr17
; %bb.462:                              ;   in Loop: Header=BB2_456 Depth=2
	s_andn2_saveexec_b64 s[40:41], vcc
; %bb.463:                              ;   in Loop: Header=BB2_456 Depth=2
	v_or_b32_e32 v17, 0x10000, v16
	v_cmp_eq_u32_sdwa vcc, v16, v39 src0_sel:WORD_0 src1_sel:DWORD
	s_nop 1
	v_cndmask_b32_e32 v45, v17, v16, vcc
; %bb.464:                              ;   in Loop: Header=BB2_456 Depth=2
	s_or_b64 exec, exec, s[40:41]
	v_lshlrev_b32_e32 v16, 16, v47
	v_lshlrev_b32_e32 v22, 16, v46
	v_pk_mul_f32 v[16:17], v[16:17], v[22:23] op_sel_hi:[0,1]
	v_and_b32_e32 v17, 0x7f800000, v16
	v_cmp_ne_u32_e32 vcc, s56, v17
                                        ; implicit-def: $vgpr46
	s_and_saveexec_b64 s[40:41], vcc
	s_xor_b64 vcc, exec, s[40:41]
; %bb.465:                              ;   in Loop: Header=BB2_456 Depth=2
	v_bfe_u32 v17, v16, 16, 1
	v_add3_u32 v46, v16, v17, s57
                                        ; implicit-def: $vgpr16_vgpr17
; %bb.466:                              ;   in Loop: Header=BB2_456 Depth=2
	s_andn2_saveexec_b64 s[40:41], vcc
; %bb.467:                              ;   in Loop: Header=BB2_456 Depth=2
	v_or_b32_e32 v17, 0x10000, v16
	v_cmp_eq_u32_sdwa vcc, v16, v39 src0_sel:WORD_0 src1_sel:DWORD
	s_nop 1
	v_cndmask_b32_e32 v46, v17, v16, vcc
; %bb.468:                              ;   in Loop: Header=BB2_456 Depth=2
	s_or_b64 exec, exec, s[40:41]
	v_lshlrev_b32_e32 v16, 16, v44
	v_lshlrev_b32_e32 v22, 16, v49
	v_pk_mul_f32 v[16:17], v[16:17], v[22:23] op_sel_hi:[0,1]
	v_and_b32_e32 v17, 0x7f800000, v16
	v_cmp_ne_u32_e32 vcc, s56, v17
                                        ; implicit-def: $vgpr49
	s_and_saveexec_b64 s[40:41], vcc
	s_xor_b64 vcc, exec, s[40:41]
; %bb.469:                              ;   in Loop: Header=BB2_456 Depth=2
	v_bfe_u32 v17, v16, 16, 1
	v_add3_u32 v49, v16, v17, s57
                                        ; implicit-def: $vgpr16_vgpr17
; %bb.470:                              ;   in Loop: Header=BB2_456 Depth=2
	s_andn2_saveexec_b64 s[40:41], vcc
	s_cbranch_execz .LBB2_455
; %bb.471:                              ;   in Loop: Header=BB2_456 Depth=2
	v_or_b32_e32 v17, 0x10000, v16
	v_cmp_eq_u32_sdwa vcc, v16, v39 src0_sel:WORD_0 src1_sel:DWORD
	s_nop 1
	v_cndmask_b32_e32 v49, v17, v16, vcc
	s_branch .LBB2_455
.LBB2_472:                              ;   in Loop: Header=BB2_308 Depth=1
	s_or_b64 exec, exec, s[38:39]
.LBB2_473:                              ;   in Loop: Header=BB2_308 Depth=1
	s_or_b64 exec, exec, s[36:37]
	v_lshlrev_b32_e32 v10, 9, v31
	v_cmp_ne_u32_e32 vcc, v43, v10
	s_and_b64 exec, exec, vcc
	s_cbranch_execz .LBB2_481
; %bb.474:                              ;   in Loop: Header=BB2_308 Depth=1
	v_lshlrev_b32_e32 v11, 6, v20
	v_sub_u32_e32 v3, v3, v11
	v_lshlrev_b32_e32 v11, 6, v21
	v_sub_u32_e32 v3, v3, v11
	v_ashrrev_i32_e32 v11, 31, v3
	v_lshrrev_b32_e32 v11, 26, v11
	v_add_u32_e32 v11, v3, v11
	v_and_b32_e32 v12, 0x7fffffc0, v11
	v_sub_u32_e32 v3, v3, v12
	v_lshlrev_b32_e32 v11, 1, v11
	v_and_b32_e32 v11, 0xffffff80, v11
	v_lshlrev_b32_e32 v3, 1, v3
	v_add3_u32 v10, v11, v3, v10
	v_sub_u32_e32 v3, v43, v10
	v_cmp_lt_i32_e32 vcc, 1, v3
	s_and_b64 exec, exec, vcc
	s_cbranch_execz .LBB2_481
; %bb.475:                              ;   in Loop: Header=BB2_308 Depth=1
	s_trap 2
	ds_read_b128 v[12:15], v0
	ds_read_b64 v[16:17], v0
	v_add_u32_e32 v20, v10, v2
	v_ashrrev_i32_e32 v21, 31, v20
	s_mov_b64 s[36:37], 0
	s_waitcnt lgkmcnt(0)
	v_lshl_add_u64 v[10:11], v[12:13], 0, v[20:21]
	v_lshl_add_u64 v[12:13], v[14:15], 0, v[20:21]
	;; [unrolled: 1-line block ×3, first 2 shown]
	s_branch .LBB2_477
.LBB2_476:                              ;   in Loop: Header=BB2_477 Depth=2
	s_or_b64 exec, exec, s[38:39]
	v_sub_u32_e32 v3, v3, v60
	v_cmp_gt_i32_e32 vcc, 2, v3
	flat_store_short_d16_hi v[14:15], v2 nt
	v_lshl_add_u64 v[10:11], v[10:11], 0, v[54:55]
	v_lshl_add_u64 v[12:13], v[12:13], 0, v[54:55]
	s_or_b64 s[36:37], vcc, s[36:37]
	v_lshl_add_u64 v[14:15], v[14:15], 0, v[54:55]
	s_andn2_b64 exec, exec, s[36:37]
	s_cbranch_execz .LBB2_481
.LBB2_477:                              ;   Parent Loop BB2_308 Depth=1
                                        ; =>  This Inner Loop Header: Depth=2
	flat_load_ushort v2, v[12:13] nt
	flat_load_ushort v16, v[10:11] nt
	s_waitcnt vmcnt(0) lgkmcnt(0)
	v_lshlrev_b32_e32 v2, 16, v2
	v_lshlrev_b32_e32 v16, 16, v16
	v_pk_mul_f32 v[16:17], v[2:3], v[16:17] op_sel_hi:[0,1]
	v_and_b32_e32 v2, 0x7f800000, v16
	v_cmp_ne_u32_e32 vcc, s56, v2
                                        ; implicit-def: $vgpr2
	s_and_saveexec_b64 s[38:39], vcc
	s_xor_b64 vcc, exec, s[38:39]
; %bb.478:                              ;   in Loop: Header=BB2_477 Depth=2
	v_bfe_u32 v2, v16, 16, 1
	v_add3_u32 v2, v16, v2, s57
                                        ; implicit-def: $vgpr16_vgpr17
; %bb.479:                              ;   in Loop: Header=BB2_477 Depth=2
	s_andn2_saveexec_b64 s[38:39], vcc
	s_cbranch_execz .LBB2_476
; %bb.480:                              ;   in Loop: Header=BB2_477 Depth=2
	v_or_b32_e32 v2, 0x10000, v16
	v_cmp_eq_u32_sdwa vcc, v16, v39 src0_sel:WORD_0 src1_sel:DWORD
	s_nop 1
	v_cndmask_b32_e32 v2, v2, v16, vcc
	s_branch .LBB2_476
.LBB2_481:                              ;   in Loop: Header=BB2_308 Depth=1
	s_or_b64 exec, exec, s[14:15]
	v_cmp_ne_u32_e64 s[14:15], 0, v38
.LBB2_482:                              ;   in Loop: Header=BB2_308 Depth=1
	s_and_saveexec_b64 s[36:37], s[4:5]
	s_cbranch_execz .LBB2_501
; %bb.483:                              ;   in Loop: Header=BB2_308 Depth=1
	s_and_saveexec_b64 vcc, s[24:25]
	s_xor_b64 s[38:39], exec, vcc
	s_cbranch_execz .LBB2_498
; %bb.484:                              ;   in Loop: Header=BB2_308 Depth=1
	s_and_saveexec_b64 s[40:41], s[6:7]
	s_cbranch_execz .LBB2_497
; %bb.485:                              ;   in Loop: Header=BB2_308 Depth=1
	s_mov_b64 s[44:45], exec
	v_mbcnt_lo_u32_b32 v2, s44, 0
	v_mbcnt_hi_u32_b32 v2, s45, v2
	v_cmp_eq_u32_e32 vcc, 0, v2
	s_waitcnt lgkmcnt(0)
	s_and_saveexec_b64 s[42:43], vcc
	s_cbranch_execz .LBB2_487
; %bb.486:                              ;   in Loop: Header=BB2_308 Depth=1
	s_bcnt1_i32_b64 vcc_lo, s[44:45]
	v_mov_b32_e32 v38, vcc_lo
	ds_add_u64 v0, v[38:39]
	s_trap 2
.LBB2_487:                              ;   in Loop: Header=BB2_308 Depth=1
	s_or_b64 exec, exec, s[42:43]
	s_trap 2
	ds_read_b64 v[2:3], v0
	v_lshl_add_u64 v[32:33], v[32:33], 0, v[36:37]
	s_waitcnt lgkmcnt(0)
	v_cmp_lt_u64_e32 vcc, v[2:3], v[32:33]
	s_and_saveexec_b64 s[42:43], vcc
	s_cbranch_execz .LBB2_496
; %bb.488:                              ;   in Loop: Header=BB2_308 Depth=1
	s_mov_b32 s60, 0
	s_mov_b64 s[44:45], 0
                                        ; implicit-def: $sgpr46_sgpr47
                                        ; implicit-def: $sgpr48_sgpr49
	s_branch .LBB2_490
.LBB2_489:                              ;   in Loop: Header=BB2_490 Depth=2
	s_or_b64 exec, exec, s[52:53]
	s_and_b64 vcc, exec, vcc
	s_or_b64 s[44:45], vcc, s[44:45]
	s_andn2_b64 vcc, s[46:47], exec
	s_and_b64 s[46:47], s[48:49], exec
	s_or_b64 s[46:47], vcc, s[46:47]
	s_andn2_b64 exec, exec, s[44:45]
	s_cbranch_execz .LBB2_494
.LBB2_490:                              ;   Parent Loop BB2_308 Depth=1
                                        ; =>  This Inner Loop Header: Depth=2
	s_add_i32 s60, s60, 1
	s_cmpk_lg_i32 s60, 0x2710
	s_cselect_b64 s[50:51], -1, 0
	s_and_b64 vcc, exec, s[50:51]
                                        ; implicit-def: $sgpr52_sgpr53
	s_cbranch_vccnz .LBB2_492
; %bb.491:                              ;   in Loop: Header=BB2_490 Depth=2
	s_trap 2
	ds_read_b64 v[2:3], v0
	s_andn2_b64 s[50:51], s[50:51], exec
	s_mov_b32 s60, 0
	s_mov_b64 s[52:53], -1
	s_waitcnt vmcnt(0) lgkmcnt(0)
	flat_load_dword v2, v[2:3] sc0 sc1
	s_waitcnt vmcnt(0) lgkmcnt(0)
	buffer_inv sc0 sc1
	v_cmp_eq_u32_e32 vcc, 0, v2
	s_and_b64 vcc, vcc, exec
	s_or_b64 s[50:51], s[50:51], vcc
.LBB2_492:                              ;   in Loop: Header=BB2_490 Depth=2
	s_andn2_b64 s[48:49], s[48:49], exec
	s_and_b64 s[52:53], s[52:53], exec
	s_mov_b64 vcc, -1
	s_or_b64 s[48:49], s[48:49], s[52:53]
	s_and_saveexec_b64 s[52:53], s[50:51]
	s_cbranch_execz .LBB2_489
; %bb.493:                              ;   in Loop: Header=BB2_490 Depth=2
	s_sleep 1
	s_trap 2
	ds_read_b64 v[2:3], v0
	s_andn2_b64 s[48:49], s[48:49], exec
	s_waitcnt lgkmcnt(0)
	v_cmp_ge_u64_e32 vcc, v[2:3], v[32:33]
	s_orn2_b64 vcc, vcc, exec
	s_branch .LBB2_489
.LBB2_494:                              ;   in Loop: Header=BB2_308 Depth=1
	s_or_b64 exec, exec, s[44:45]
	s_and_saveexec_b64 vcc, s[46:47]
	s_xor_b64 vcc, exec, vcc
	s_cbranch_execz .LBB2_496
; %bb.495:                              ;   in Loop: Header=BB2_308 Depth=1
	v_mov_b32_e32 v2, 1
	ds_write_b32 v0, v2
	s_trap 2
.LBB2_496:                              ;   in Loop: Header=BB2_308 Depth=1
	s_or_b64 exec, exec, s[42:43]
	;;#ASMSTART
	s_wakeup
	;;#ASMEND
.LBB2_497:                              ;   in Loop: Header=BB2_308 Depth=1
	s_or_b64 exec, exec, s[40:41]
.LBB2_498:                              ;   in Loop: Header=BB2_308 Depth=1
	s_andn2_saveexec_b64 vcc, s[38:39]
	s_cbranch_execz .LBB2_500
; %bb.499:                              ;   in Loop: Header=BB2_308 Depth=1
	s_waitcnt lgkmcnt(0)
	s_barrier
.LBB2_500:                              ;   in Loop: Header=BB2_308 Depth=1
	s_or_b64 exec, exec, vcc
.LBB2_501:                              ;   in Loop: Header=BB2_308 Depth=1
	s_or_b64 exec, exec, s[36:37]
	v_and_b32_e32 v2, 16, v62
	v_cmp_ne_u32_e32 vcc, 0, v2
	s_and_b64 vcc, vcc, s[14:15]
	s_and_saveexec_b64 s[14:15], vcc
	s_cbranch_execz .LBB2_503
; %bb.502:                              ;   in Loop: Header=BB2_308 Depth=1
	buffer_wbl2 sc1
	s_waitcnt vmcnt(0) lgkmcnt(0)
	buffer_inv sc1
.LBB2_503:                              ;   in Loop: Header=BB2_308 Depth=1
	s_or_b64 exec, exec, s[14:15]
	v_and_b32_e32 v2, 32, v62
	v_cmp_ne_u32_e32 vcc, 0, v2
	s_and_saveexec_b64 s[14:15], vcc
	s_cbranch_execz .LBB2_505
; %bb.504:                              ;   in Loop: Header=BB2_308 Depth=1
	v_lshl_add_u64 v[8:9], v[8:9], 0, 1
	flat_store_dwordx2 v[24:25], v[8:9] sc0 sc1
.LBB2_505:                              ;   in Loop: Header=BB2_308 Depth=1
	s_or_b64 exec, exec, s[14:15]
	v_mov_b32_e32 v3, v61
.LBB2_506:                              ;   in Loop: Header=BB2_308 Depth=1
	s_or_b64 exec, exec, s[34:35]
	s_and_saveexec_b64 s[34:35], s[30:31]
	s_cbranch_execz .LBB2_307
; %bb.507:                              ;   in Loop: Header=BB2_308 Depth=1
	v_and_b32_e32 v2, 4, v62
	v_cmp_ne_u32_e32 vcc, 0, v2
	s_mov_b64 s[30:31], -1
	s_waitcnt lgkmcnt(0)
	v_lshl_add_u64 v[10:11], v[8:9], 0, 1
	s_and_saveexec_b64 s[14:15], vcc
	s_cbranch_execnz .LBB2_510
; %bb.508:                              ;   in Loop: Header=BB2_308 Depth=1
	s_or_b64 exec, exec, s[14:15]
	s_xor_b64 s[14:15], s[30:31], -1
	s_and_saveexec_b64 s[30:31], s[14:15]
	s_cbranch_execnz .LBB2_521
.LBB2_509:                              ;   in Loop: Header=BB2_308 Depth=1
	s_or_b64 exec, exec, s[30:31]
	s_and_saveexec_b64 s[14:15], s[4:5]
	s_cbranch_execnz .LBB2_530
	s_branch .LBB2_548
.LBB2_510:                              ;   in Loop: Header=BB2_308 Depth=1
	v_lshl_add_u64 v[12:13], v[8:9], 0, 1
	v_cmp_lt_u64_e32 vcc, v[28:29], v[12:13]
	v_mov_b32_e32 v2, 1
	s_and_saveexec_b64 s[30:31], vcc
	s_cbranch_execz .LBB2_520
; %bb.511:                              ;   in Loop: Header=BB2_308 Depth=1
	s_mov_b64 s[36:37], 0
	v_mov_b32_e32 v2, 0
                                        ; implicit-def: $sgpr38_sgpr39
	s_branch .LBB2_515
.LBB2_512:                              ;   in Loop: Header=BB2_515 Depth=2
	s_or_b64 exec, exec, s[46:47]
	v_mov_b32_e32 v14, 0
	s_orn2_b64 s[44:45], s[44:45], exec
.LBB2_513:                              ;   in Loop: Header=BB2_515 Depth=2
	s_or_b64 exec, exec, s[42:43]
	s_andn2_b64 vcc, s[38:39], exec
	s_and_b64 s[38:39], s[44:45], exec
	s_or_b64 s[38:39], vcc, s[38:39]
	v_mov_b32_e32 v2, v14
.LBB2_514:                              ;   in Loop: Header=BB2_515 Depth=2
	s_or_b64 exec, exec, s[40:41]
	s_waitcnt vmcnt(0) lgkmcnt(0)
	v_cmp_ge_u64_e32 vcc, v[28:29], v[12:13]
	s_xor_b64 s[40:41], s[38:39], -1
	s_or_b64 vcc, s[40:41], vcc
	s_and_b64 vcc, exec, vcc
	s_or_b64 s[36:37], vcc, s[36:37]
	s_andn2_b64 exec, exec, s[36:37]
	s_cbranch_execz .LBB2_519
.LBB2_515:                              ;   Parent Loop BB2_308 Depth=1
                                        ; =>  This Inner Loop Header: Depth=2
	s_sleep 1
	flat_load_dwordx2 v[28:29], v[24:25] sc0 sc1
	v_and_b32_e32 v14, 64, v62
	v_cmp_eq_u32_e32 vcc, 0, v14
	s_andn2_b64 s[38:39], s[38:39], exec
	s_and_saveexec_b64 s[40:41], vcc
	s_cbranch_execz .LBB2_514
; %bb.516:                              ;   in Loop: Header=BB2_515 Depth=2
	v_add_u32_e32 v14, 1, v2
	v_cmp_lt_i32_e32 vcc, s55, v2
	s_mov_b64 s[44:45], -1
	s_and_saveexec_b64 s[42:43], vcc
	s_cbranch_execz .LBB2_513
; %bb.517:                              ;   in Loop: Header=BB2_515 Depth=2
	s_trap 2
	ds_read_b64 v[14:15], v0
	s_waitcnt vmcnt(0) lgkmcnt(0)
	flat_load_dword v2, v[14:15] sc0 sc1
	s_waitcnt vmcnt(0) lgkmcnt(0)
	buffer_inv sc0 sc1
	v_cmp_ne_u32_e32 vcc, 0, v2
	s_and_saveexec_b64 s[46:47], vcc
	s_cbranch_execz .LBB2_512
; %bb.518:                              ;   in Loop: Header=BB2_515 Depth=2
	v_or_b32_e32 v62, 64, v62
	s_xor_b64 s[44:45], exec, -1
	ds_write_b32 v0, v2
	s_trap 2
	s_branch .LBB2_512
.LBB2_519:                              ;   in Loop: Header=BB2_308 Depth=1
	s_or_b64 exec, exec, s[36:37]
	v_and_b32_e32 v2, 4, v62
.LBB2_520:                              ;   in Loop: Header=BB2_308 Depth=1
	s_or_b64 exec, exec, s[30:31]
	v_cmp_eq_u32_e32 vcc, 0, v2
	s_orn2_b64 s[30:31], vcc, exec
	;;#ASMSTART
	s_wakeup
	;;#ASMEND
	s_or_b64 exec, exec, s[14:15]
	s_xor_b64 s[14:15], s[30:31], -1
	s_and_saveexec_b64 s[30:31], s[14:15]
	s_cbranch_execz .LBB2_509
.LBB2_521:                              ;   in Loop: Header=BB2_308 Depth=1
	v_and_b32_e32 v2, 0x100, v62
	v_cmp_ne_u32_e32 vcc, 0, v2
	v_and_b32_e32 v2, 7, v8
	s_mov_b64 s[14:15], -1
                                        ; implicit-def: $vgpr8_vgpr9
	s_and_saveexec_b64 s[36:37], vcc
	s_cbranch_execz .LBB2_525
; %bb.522:                              ;   in Loop: Header=BB2_308 Depth=1
	v_mad_u64_u32 v[12:13], s[14:15], v2, 24, v[6:7]
	flat_load_dword v8, v[12:13]
	s_waitcnt vmcnt(0) lgkmcnt(0)
	v_cmp_ne_u32_e32 vcc, 1, v8
	v_cmp_eq_u32_e64 s[14:15], 1, v8
                                        ; implicit-def: $vgpr8_vgpr9
	s_and_saveexec_b64 s[38:39], s[14:15]
	s_cbranch_execz .LBB2_524
; %bb.523:                              ;   in Loop: Header=BB2_308 Depth=1
	flat_load_dword v8, v[12:13] offset:4 sc0 sc1
	s_waitcnt vmcnt(0) lgkmcnt(0)
	v_ashrrev_i32_e32 v9, 31, v8
	v_lshrrev_b64 v[8:9], 1, v[8:9]
.LBB2_524:                              ;   in Loop: Header=BB2_308 Depth=1
	s_or_b64 exec, exec, s[38:39]
	s_orn2_b64 s[14:15], vcc, exec
.LBB2_525:                              ;   in Loop: Header=BB2_308 Depth=1
	s_or_b64 exec, exec, s[36:37]
	s_and_saveexec_b64 vcc, s[14:15]
; %bb.526:                              ;   in Loop: Header=BB2_308 Depth=1
	v_accvgpr_read_b32 v8, a6
	v_mad_i64_i32 v[8:9], s[14:15], v2, v8, 0
; %bb.527:                              ;   in Loop: Header=BB2_308 Depth=1
	s_or_b64 exec, exec, vcc
	v_and_b32_e32 v2, 0x2000, v62
	v_lshl_add_u64 v[8:9], v[8:9], 1, v[26:27]
	v_cmp_ne_u32_e32 vcc, 0, v2
	ds_write_b64 v0, v[8:9] offset:728
	s_and_saveexec_b64 s[14:15], vcc
	s_cbranch_execz .LBB2_529
; %bb.528:                              ;   in Loop: Header=BB2_308 Depth=1
	ds_read_b64 v[8:9], v0 offset:584
	s_waitcnt lgkmcnt(0)
	v_lshl_add_u64 v[8:9], v[8:9], 0, 1
	ds_write_b64 v0, v[8:9] offset:584
.LBB2_529:                              ;   in Loop: Header=BB2_308 Depth=1
	s_or_b64 exec, exec, s[14:15]
	v_mov_b64_e32 v[8:9], v[10:11]
	s_or_b64 exec, exec, s[30:31]
	s_and_saveexec_b64 s[14:15], s[4:5]
	s_cbranch_execz .LBB2_548
.LBB2_530:                              ;   in Loop: Header=BB2_308 Depth=1
	s_and_saveexec_b64 vcc, s[24:25]
	s_xor_b64 s[30:31], exec, vcc
	s_cbranch_execz .LBB2_545
; %bb.531:                              ;   in Loop: Header=BB2_308 Depth=1
	s_and_saveexec_b64 s[36:37], s[6:7]
	s_cbranch_execz .LBB2_544
; %bb.532:                              ;   in Loop: Header=BB2_308 Depth=1
	s_mov_b64 s[40:41], exec
	v_mbcnt_lo_u32_b32 v2, s40, 0
	v_mbcnt_hi_u32_b32 v2, s41, v2
	v_cmp_eq_u32_e32 vcc, 0, v2
	s_waitcnt lgkmcnt(0)
	s_and_saveexec_b64 s[38:39], vcc
	s_cbranch_execz .LBB2_534
; %bb.533:                              ;   in Loop: Header=BB2_308 Depth=1
	s_bcnt1_i32_b64 vcc_lo, s[40:41]
	v_mov_b32_e32 v38, vcc_lo
	ds_add_u64 v0, v[38:39]
	s_trap 2
.LBB2_534:                              ;   in Loop: Header=BB2_308 Depth=1
	s_or_b64 exec, exec, s[38:39]
	s_trap 2
	ds_read_b64 v[10:11], v0
	v_lshl_add_u64 v[32:33], v[32:33], 0, v[36:37]
	s_waitcnt lgkmcnt(0)
	v_cmp_lt_u64_e32 vcc, v[10:11], v[32:33]
	s_and_saveexec_b64 s[38:39], vcc
	s_cbranch_execz .LBB2_543
; %bb.535:                              ;   in Loop: Header=BB2_308 Depth=1
	s_mov_b32 s50, 0
	s_mov_b64 s[40:41], 0
                                        ; implicit-def: $sgpr42_sgpr43
                                        ; implicit-def: $sgpr44_sgpr45
	s_branch .LBB2_537
.LBB2_536:                              ;   in Loop: Header=BB2_537 Depth=2
	s_or_b64 exec, exec, s[48:49]
	s_and_b64 vcc, exec, vcc
	s_or_b64 s[40:41], vcc, s[40:41]
	s_andn2_b64 vcc, s[42:43], exec
	s_and_b64 s[42:43], s[44:45], exec
	s_or_b64 s[42:43], vcc, s[42:43]
	s_andn2_b64 exec, exec, s[40:41]
	s_cbranch_execz .LBB2_541
.LBB2_537:                              ;   Parent Loop BB2_308 Depth=1
                                        ; =>  This Inner Loop Header: Depth=2
	s_add_i32 s50, s50, 1
	s_cmpk_lg_i32 s50, 0x2710
	s_cselect_b64 s[46:47], -1, 0
	s_and_b64 vcc, exec, s[46:47]
                                        ; implicit-def: $sgpr48_sgpr49
	s_cbranch_vccnz .LBB2_539
; %bb.538:                              ;   in Loop: Header=BB2_537 Depth=2
	s_trap 2
	ds_read_b64 v[10:11], v0
	s_andn2_b64 s[46:47], s[46:47], exec
	s_mov_b32 s50, 0
	s_mov_b64 s[48:49], -1
	s_waitcnt vmcnt(0) lgkmcnt(0)
	flat_load_dword v2, v[10:11] sc0 sc1
	s_waitcnt vmcnt(0) lgkmcnt(0)
	buffer_inv sc0 sc1
	v_cmp_eq_u32_e32 vcc, 0, v2
	s_and_b64 vcc, vcc, exec
	s_or_b64 s[46:47], s[46:47], vcc
.LBB2_539:                              ;   in Loop: Header=BB2_537 Depth=2
	s_andn2_b64 s[44:45], s[44:45], exec
	s_and_b64 s[48:49], s[48:49], exec
	s_mov_b64 vcc, -1
	s_or_b64 s[44:45], s[44:45], s[48:49]
	s_and_saveexec_b64 s[48:49], s[46:47]
	s_cbranch_execz .LBB2_536
; %bb.540:                              ;   in Loop: Header=BB2_537 Depth=2
	s_sleep 1
	s_trap 2
	ds_read_b64 v[10:11], v0
	s_andn2_b64 s[44:45], s[44:45], exec
	s_waitcnt lgkmcnt(0)
	v_cmp_ge_u64_e32 vcc, v[10:11], v[32:33]
	s_orn2_b64 vcc, vcc, exec
	s_branch .LBB2_536
.LBB2_541:                              ;   in Loop: Header=BB2_308 Depth=1
	s_or_b64 exec, exec, s[40:41]
	s_and_saveexec_b64 vcc, s[42:43]
	s_xor_b64 vcc, exec, vcc
	s_cbranch_execz .LBB2_543
; %bb.542:                              ;   in Loop: Header=BB2_308 Depth=1
	v_mov_b32_e32 v2, 1
	ds_write_b32 v0, v2
	s_trap 2
.LBB2_543:                              ;   in Loop: Header=BB2_308 Depth=1
	s_or_b64 exec, exec, s[38:39]
	;;#ASMSTART
	s_wakeup
	;;#ASMEND
.LBB2_544:                              ;   in Loop: Header=BB2_308 Depth=1
	s_or_b64 exec, exec, s[36:37]
.LBB2_545:                              ;   in Loop: Header=BB2_308 Depth=1
	s_andn2_saveexec_b64 vcc, s[30:31]
	s_cbranch_execz .LBB2_547
; %bb.546:                              ;   in Loop: Header=BB2_308 Depth=1
	s_waitcnt lgkmcnt(0)
	s_barrier
.LBB2_547:                              ;   in Loop: Header=BB2_308 Depth=1
	s_or_b64 exec, exec, vcc
.LBB2_548:                              ;   in Loop: Header=BB2_308 Depth=1
	s_or_b64 exec, exec, s[14:15]
	s_trap 2
	ds_read_b32 v2, v0
	v_sub_u32_e32 v3, v42, v3
	v_min_i32_e32 v3, v61, v3
	v_cmp_lt_i32_e32 vcc, 0, v3
	s_waitcnt lgkmcnt(0)
	v_readfirstlane_b32 s14, v2
	s_cmp_eq_u32 s14, 0
	s_cselect_b64 s[14:15], -1, 0
	v_and_b32_e32 v2, 16, v62
	s_and_b64 s[14:15], vcc, s[14:15]
	v_cmp_ne_u32_e32 vcc, 0, v2
	s_and_b64 vcc, vcc, s[14:15]
	s_and_saveexec_b64 s[14:15], vcc
	s_cbranch_execz .LBB2_550
; %bb.549:                              ;   in Loop: Header=BB2_308 Depth=1
	buffer_wbl2 sc1
	s_waitcnt vmcnt(0)
	buffer_inv sc1
.LBB2_550:                              ;   in Loop: Header=BB2_308 Depth=1
	s_or_b64 exec, exec, s[14:15]
	v_and_b32_e32 v2, 32, v62
	v_cmp_ne_u32_e32 vcc, 0, v2
	s_and_saveexec_b64 s[14:15], vcc
	s_cbranch_execz .LBB2_306
; %bb.551:                              ;   in Loop: Header=BB2_308 Depth=1
	v_lshl_add_u64 v[8:9], v[8:9], 0, 1
	flat_store_dwordx2 v[24:25], v[8:9] sc0 sc1
	s_branch .LBB2_306
.LBB2_552:
	s_or_b64 exec, exec, s[26:27]
	v_mov_b32_e32 v31, v23
	v_accvgpr_read_b32 v23, a5
	v_accvgpr_read_b32 v21, a0
	;; [unrolled: 1-line block ×3, first 2 shown]
.LBB2_553:
	s_or_b64 exec, exec, s[18:19]
.LBB2_554:
	s_or_b64 exec, exec, s[16:17]
                                        ; implicit-def: $vgpr18_vgpr19
                                        ; implicit-def: $vgpr4_vgpr5
                                        ; implicit-def: $vgpr58_vgpr59
                                        ; implicit-def: $vgpr60
                                        ; implicit-def: $vgpr28_vgpr29
                                        ; implicit-def: $vgpr26_vgpr27
                                        ; implicit-def: $vgpr24_vgpr25
                                        ; implicit-def: $vgpr0
                                        ; implicit-def: $vgpr15
                                        ; implicit-def: $vgpr34_vgpr35
.LBB2_555:
	s_andn2_saveexec_b64 s[18:19], s[22:23]
	s_cbranch_execz .LBB2_728
; %bb.556:
	s_mov_b64 s[24:25], 0
	v_cmp_ne_u64_e32 vcc, 0, v[4:5]
	v_mov_b64_e32 v[32:33], 0
	s_and_saveexec_b64 s[22:23], vcc
	s_cbranch_execz .LBB2_727
; %bb.557:
	v_and_b32_e32 v2, 63, v31
	v_cmp_eq_u32_e64 s[6:7], 0, v2
	v_ashrrev_i32_e32 v2, 31, v0
	v_lshrrev_b32_e32 v2, 26, v2
	v_add_u32_e32 v2, v0, v2
	v_and_b32_e32 v3, 0xffffffc0, v2
	v_ashrrev_i32_e32 v30, 6, v2
	v_sub_u32_e32 v3, v0, v3
	v_lshlrev_b32_e32 v2, 11, v30
	v_lshl_add_u32 v14, v3, 4, v2
	v_lshrrev_b32_e32 v10, 6, v1
	v_cmp_lt_i32_e64 s[12:13], v3, v15
	v_ashrrev_i32_e32 v15, 31, v14
	v_accvgpr_write_b32 a8, v14
	v_mov_b32_e32 v2, 0xfffff800
	v_accvgpr_write_b32 a9, v15
	v_lshl_add_u32 v14, v10, 11, v2
	v_ashrrev_i32_e32 v15, 31, v14
	s_mov_b64 s[14:15], 0x800
	v_lshlrev_b32_e32 v46, 10, v10
	v_lshl_add_u64 v[16:17], v[14:15], 0, s[14:15]
	v_add_u32_e32 v14, 0xfffffc00, v46
	v_mov_b32_e32 v2, 0xfffffe00
	v_ashrrev_i32_e32 v15, 31, v14
	s_mov_b64 s[14:15], 0x400
	v_lshl_add_u32 v20, v10, 9, v2
	v_accvgpr_write_b32 a1, v21
	v_cmp_ne_u32_sdwa s[26:27], v21, v1 src0_sel:WORD_0 src1_sel:DWORD
	v_lshl_add_u64 v[14:15], v[14:15], 0, s[14:15]
	v_ashrrev_i32_e32 v21, 31, v20
	s_mov_b64 s[14:15], 0x200
	v_lshlrev_b32_e32 v47, 7, v10
	s_lshr_b32 s2, s58, 27
	v_lshl_add_u64 v[48:49], v[20:21], 0, s[14:15]
	v_add_u32_e32 v20, 0xffffff80, v47
	v_accvgpr_write_b32 a4, v22
	s_add_i32 s58, s58, s2
	v_cmp_eq_u32_e32 vcc, 64, v1
	v_mov_b32_e32 v13, 0
	v_ashrrev_i32_e32 v21, 31, v20
	s_mov_b64 s[14:15], 0x80
	v_mov_b64_e32 v[52:53], 0
	s_waitcnt lgkmcnt(0)
	v_accvgpr_write_b32 a6, v58
	v_accvgpr_write_b32 a5, v23
	s_ashr_i32 s54, s58, 5
	v_cmp_ge_i32_e64 s[2:3], v0, v1
	v_cmp_ne_u32_e64 s[4:5], 64, v1
	v_accvgpr_write_b32 a0, v31
	v_mov_b32_e32 v11, v13
	v_cmp_gt_i32_e64 s[10:11], 1, v3
	v_lshl_add_u64 v[50:51], v[20:21], 0, s[14:15]
	v_cmp_ne_u64_e64 s[14:15], 0, v[58:59]
	s_movk_i32 s55, 0x270e
	v_mov_b32_e32 v56, 1
	s_xor_b64 s[28:29], vcc, -1
	v_mov_b64_e32 v[32:33], v[52:53]
	v_accvgpr_write_b32 a7, v59
	s_trap 2
	s_branch .LBB2_561
.LBB2_558:                              ;   in Loop: Header=BB2_561 Depth=1
	s_or_b64 exec, exec, vcc
	v_lshl_add_u64 v[8:9], v[8:9], 0, 1
	flat_store_dwordx2 v[24:25], v[8:9] sc0 sc1
.LBB2_559:                              ;   in Loop: Header=BB2_561 Depth=1
	s_or_b64 exec, exec, s[16:17]
.LBB2_560:                              ;   in Loop: Header=BB2_561 Depth=1
	s_or_b64 exec, exec, s[34:35]
	v_lshl_add_u64 v[52:53], v[52:53], 0, v[34:35]
	v_cmp_ge_u64_e32 vcc, v[52:53], v[4:5]
	s_or_b64 s[24:25], vcc, s[24:25]
	s_andn2_b64 exec, exec, s[24:25]
	s_cbranch_execz .LBB2_726
.LBB2_561:                              ; =>This Loop Header: Depth=1
                                        ;     Child Loop BB2_570 Depth 2
                                        ;     Child Loop BB2_594 Depth 2
                                        ;     Child Loop BB2_613 Depth 2
                                        ;     Child Loop BB2_633 Depth 2
                                        ;     Child Loop BB2_638 Depth 2
                                        ;     Child Loop BB2_646 Depth 2
                                        ;     Child Loop BB2_651 Depth 2
                                        ;     Child Loop BB2_661 Depth 2
                                        ;     Child Loop BB2_686 Depth 2
                                        ;     Child Loop BB2_710 Depth 2
	v_sub_co_u32_e32 v20, vcc, v4, v52
	s_nop 1
	v_subb_co_u32_e32 v21, vcc, v5, v53, vcc
	v_cmp_lt_u64_e32 vcc, v[34:35], v[20:21]
	s_nop 1
	v_cndmask_b32_e64 v55, v21, 0, vcc
	v_cndmask_b32_e32 v54, v20, v34, vcc
	v_add_u32_e32 v2, 15, v54
	v_cmp_eq_u64_e32 vcc, 0, v[54:55]
	v_and_b32_e32 v2, 0x3ffffff0, v2
	s_or_b64 s[30:31], s[2:3], vcc
	v_max_i32_e32 v57, s54, v2
	s_xor_b64 s[16:17], s[30:31], -1
	v_mov_b32_e32 v2, 0
	s_and_saveexec_b64 s[34:35], s[16:17]
	s_cbranch_execz .LBB2_679
; %bb.562:                              ;   in Loop: Header=BB2_561 Depth=1
	s_and_saveexec_b64 s[16:17], s[0:1]
	s_cbranch_execz .LBB2_564
; %bb.563:                              ;   in Loop: Header=BB2_561 Depth=1
	s_trap 2
	ds_read_b64 v[20:21], v0
	v_mov_b32_e32 v12, v13
	s_waitcnt lgkmcnt(0)
	v_lshl_add_u64 v[20:21], v[18:19], 1, v[20:21]
	v_lshl_add_u64 v[20:21], v[52:53], 1, v[20:21]
	ds_write_b64 v0, v[20:21]
	ds_write_b64 v0, v[12:13]
.LBB2_564:                              ;   in Loop: Header=BB2_561 Depth=1
	s_or_b64 exec, exec, s[16:17]
	v_and_b32_e32 v2, 8, v62
	v_cmp_ne_u32_e32 vcc, 0, v2
	s_mov_b64 s[36:37], -1
	v_lshl_add_u64 v[40:41], v[8:9], 0, 1
	s_and_saveexec_b64 s[16:17], vcc
	s_cbranch_execz .LBB2_576
; %bb.565:                              ;   in Loop: Header=BB2_561 Depth=1
	v_lshl_add_u64 v[20:21], v[28:29], 0, 8
	v_lshl_add_u64 v[42:43], v[8:9], 0, 1
	v_cmp_lt_u64_e32 vcc, v[20:21], v[42:43]
	v_mov_b32_e32 v2, 1
	s_and_saveexec_b64 s[36:37], vcc
	s_cbranch_execz .LBB2_575
; %bb.566:                              ;   in Loop: Header=BB2_561 Depth=1
	s_mov_b64 s[38:39], 0
	v_mov_b32_e32 v2, 0
                                        ; implicit-def: $sgpr40_sgpr41
	s_branch .LBB2_570
.LBB2_567:                              ;   in Loop: Header=BB2_570 Depth=2
	s_or_b64 exec, exec, s[48:49]
	v_mov_b32_e32 v12, 0
	s_orn2_b64 s[46:47], s[46:47], exec
.LBB2_568:                              ;   in Loop: Header=BB2_570 Depth=2
	s_or_b64 exec, exec, s[44:45]
	s_andn2_b64 vcc, s[40:41], exec
	s_and_b64 s[40:41], s[46:47], exec
	s_or_b64 s[40:41], vcc, s[40:41]
	v_mov_b32_e32 v2, v12
.LBB2_569:                              ;   in Loop: Header=BB2_570 Depth=2
	s_or_b64 exec, exec, s[42:43]
	s_waitcnt vmcnt(0) lgkmcnt(0)
	v_lshl_add_u64 v[20:21], v[28:29], 0, 8
	v_cmp_ge_u64_e32 vcc, v[20:21], v[42:43]
	s_xor_b64 s[42:43], s[40:41], -1
	s_or_b64 vcc, s[42:43], vcc
	s_and_b64 vcc, exec, vcc
	s_or_b64 s[38:39], vcc, s[38:39]
	s_andn2_b64 exec, exec, s[38:39]
	s_cbranch_execz .LBB2_574
.LBB2_570:                              ;   Parent Loop BB2_561 Depth=1
                                        ; =>  This Inner Loop Header: Depth=2
	s_sleep 1
	flat_load_dwordx2 v[28:29], v[24:25] sc0 sc1
	v_and_b32_e32 v12, 64, v62
	v_cmp_eq_u32_e32 vcc, 0, v12
	s_andn2_b64 s[40:41], s[40:41], exec
	s_and_saveexec_b64 s[42:43], vcc
	s_cbranch_execz .LBB2_569
; %bb.571:                              ;   in Loop: Header=BB2_570 Depth=2
	v_add_u32_e32 v12, 1, v2
	v_cmp_lt_i32_e32 vcc, s55, v2
	s_mov_b64 s[46:47], -1
	s_and_saveexec_b64 s[44:45], vcc
	s_cbranch_execz .LBB2_568
; %bb.572:                              ;   in Loop: Header=BB2_570 Depth=2
	s_trap 2
	ds_read_b64 v[20:21], v0
	s_waitcnt vmcnt(0) lgkmcnt(0)
	flat_load_dword v2, v[20:21] sc0 sc1
	s_waitcnt vmcnt(0) lgkmcnt(0)
	buffer_inv sc0 sc1
	v_cmp_ne_u32_e32 vcc, 0, v2
	s_and_saveexec_b64 s[48:49], vcc
	s_cbranch_execz .LBB2_567
; %bb.573:                              ;   in Loop: Header=BB2_570 Depth=2
	v_or_b32_e32 v62, 64, v62
	s_xor_b64 s[46:47], exec, -1
	ds_write_b32 v0, v2
	s_trap 2
	s_branch .LBB2_567
.LBB2_574:                              ;   in Loop: Header=BB2_561 Depth=1
	s_or_b64 exec, exec, s[38:39]
	v_and_b32_e32 v2, 8, v62
.LBB2_575:                              ;   in Loop: Header=BB2_561 Depth=1
	s_or_b64 exec, exec, s[36:37]
	v_cmp_eq_u32_e32 vcc, 0, v2
	s_orn2_b64 s[36:37], vcc, exec
	;;#ASMSTART
	s_wakeup
	;;#ASMEND
.LBB2_576:                              ;   in Loop: Header=BB2_561 Depth=1
	s_or_b64 exec, exec, s[16:17]
	s_xor_b64 s[16:17], s[36:37], -1
	v_min_u32_e32 v57, v57, v54
	s_and_saveexec_b64 s[36:37], s[16:17]
	s_cbranch_execz .LBB2_586
; %bb.577:                              ;   in Loop: Header=BB2_561 Depth=1
	v_and_b32_e32 v2, 0x100, v62
	v_cmp_ne_u32_e32 vcc, 0, v2
	v_and_b32_e32 v2, 7, v8
	s_mov_b64 s[16:17], -1
                                        ; implicit-def: $vgpr8_vgpr9
	s_and_saveexec_b64 s[38:39], vcc
	s_cbranch_execz .LBB2_581
; %bb.578:                              ;   in Loop: Header=BB2_561 Depth=1
	v_mad_u64_u32 v[20:21], s[16:17], v2, 24, v[6:7]
	flat_load_dword v8, v[20:21]
	v_lshlrev_b32_e32 v12, 1, v57
	flat_store_dwordx2 v[20:21], v[12:13] offset:8
	s_waitcnt vmcnt(0) lgkmcnt(0)
	v_cmp_ne_u32_e32 vcc, 1, v8
	v_cmp_eq_u32_e64 s[16:17], 1, v8
                                        ; implicit-def: $vgpr8_vgpr9
	s_and_saveexec_b64 s[40:41], s[16:17]
	s_cbranch_execz .LBB2_580
; %bb.579:                              ;   in Loop: Header=BB2_561 Depth=1
	flat_load_dword v8, v[20:21] offset:4 sc0 sc1
	s_waitcnt vmcnt(0) lgkmcnt(0)
	v_ashrrev_i32_e32 v9, 31, v8
	v_lshrrev_b64 v[8:9], 1, v[8:9]
.LBB2_580:                              ;   in Loop: Header=BB2_561 Depth=1
	s_or_b64 exec, exec, s[40:41]
	s_orn2_b64 s[16:17], vcc, exec
.LBB2_581:                              ;   in Loop: Header=BB2_561 Depth=1
	s_or_b64 exec, exec, s[38:39]
	s_and_saveexec_b64 vcc, s[16:17]
; %bb.582:                              ;   in Loop: Header=BB2_561 Depth=1
	v_mad_i64_i32 v[8:9], s[16:17], v2, v60, 0
; %bb.583:                              ;   in Loop: Header=BB2_561 Depth=1
	s_or_b64 exec, exec, vcc
	v_and_b32_e32 v2, 0x2000, v62
	v_lshl_add_u64 v[8:9], v[8:9], 1, v[26:27]
	v_cmp_ne_u32_e32 vcc, 0, v2
	ds_write_b64 v0, v[8:9] offset:784
	s_and_saveexec_b64 s[16:17], vcc
	s_cbranch_execz .LBB2_585
; %bb.584:                              ;   in Loop: Header=BB2_561 Depth=1
	ds_read_b64 v[8:9], v0 offset:584
	s_waitcnt lgkmcnt(0)
	v_lshl_add_u64 v[8:9], v[8:9], 0, 1
	ds_write_b64 v0, v[8:9] offset:584
.LBB2_585:                              ;   in Loop: Header=BB2_561 Depth=1
	s_or_b64 exec, exec, s[16:17]
	v_mov_b64_e32 v[8:9], v[40:41]
.LBB2_586:                              ;   in Loop: Header=BB2_561 Depth=1
	s_or_b64 exec, exec, s[36:37]
	s_and_saveexec_b64 s[16:17], s[4:5]
	s_cbranch_execz .LBB2_605
; %bb.587:                              ;   in Loop: Header=BB2_561 Depth=1
	s_and_saveexec_b64 vcc, s[26:27]
	s_xor_b64 s[36:37], exec, vcc
	s_cbranch_execz .LBB2_602
; %bb.588:                              ;   in Loop: Header=BB2_561 Depth=1
	s_and_saveexec_b64 s[38:39], s[6:7]
	s_cbranch_execz .LBB2_601
; %bb.589:                              ;   in Loop: Header=BB2_561 Depth=1
	s_mov_b64 s[42:43], exec
	v_mbcnt_lo_u32_b32 v2, s42, 0
	v_mbcnt_hi_u32_b32 v2, s43, v2
	v_cmp_eq_u32_e32 vcc, 0, v2
	s_waitcnt lgkmcnt(0)
	s_and_saveexec_b64 s[40:41], vcc
	s_cbranch_execz .LBB2_591
; %bb.590:                              ;   in Loop: Header=BB2_561 Depth=1
	s_bcnt1_i32_b64 vcc_lo, s[42:43]
	v_mov_b32_e32 v12, vcc_lo
	ds_add_u64 v0, v[12:13]
	s_trap 2
.LBB2_591:                              ;   in Loop: Header=BB2_561 Depth=1
	s_or_b64 exec, exec, s[40:41]
	s_trap 2
	ds_read_b64 v[20:21], v0
	v_lshl_add_u64 v[32:33], v[32:33], 0, v[10:11]
	s_waitcnt lgkmcnt(0)
	v_cmp_lt_u64_e32 vcc, v[20:21], v[32:33]
	s_and_saveexec_b64 s[40:41], vcc
	s_cbranch_execz .LBB2_600
; %bb.592:                              ;   in Loop: Header=BB2_561 Depth=1
	s_mov_b32 s52, 0
	s_mov_b64 s[42:43], 0
                                        ; implicit-def: $sgpr44_sgpr45
                                        ; implicit-def: $sgpr46_sgpr47
	s_branch .LBB2_594
.LBB2_593:                              ;   in Loop: Header=BB2_594 Depth=2
	s_or_b64 exec, exec, s[50:51]
	s_and_b64 vcc, exec, vcc
	s_or_b64 s[42:43], vcc, s[42:43]
	s_andn2_b64 vcc, s[44:45], exec
	s_and_b64 s[44:45], s[46:47], exec
	s_or_b64 s[44:45], vcc, s[44:45]
	s_andn2_b64 exec, exec, s[42:43]
	s_cbranch_execz .LBB2_598
.LBB2_594:                              ;   Parent Loop BB2_561 Depth=1
                                        ; =>  This Inner Loop Header: Depth=2
	s_add_i32 s52, s52, 1
	s_cmpk_lg_i32 s52, 0x2710
	s_cselect_b64 s[48:49], -1, 0
	s_and_b64 vcc, exec, s[48:49]
                                        ; implicit-def: $sgpr50_sgpr51
	s_cbranch_vccnz .LBB2_596
; %bb.595:                              ;   in Loop: Header=BB2_594 Depth=2
	s_trap 2
	ds_read_b64 v[20:21], v0
	s_andn2_b64 s[48:49], s[48:49], exec
	s_mov_b32 s52, 0
	s_mov_b64 s[50:51], -1
	s_waitcnt vmcnt(0) lgkmcnt(0)
	flat_load_dword v2, v[20:21] sc0 sc1
	s_waitcnt vmcnt(0) lgkmcnt(0)
	buffer_inv sc0 sc1
	v_cmp_eq_u32_e32 vcc, 0, v2
	s_and_b64 vcc, vcc, exec
	s_or_b64 s[48:49], s[48:49], vcc
.LBB2_596:                              ;   in Loop: Header=BB2_594 Depth=2
	s_andn2_b64 s[46:47], s[46:47], exec
	s_and_b64 s[50:51], s[50:51], exec
	s_mov_b64 vcc, -1
	s_or_b64 s[46:47], s[46:47], s[50:51]
	s_and_saveexec_b64 s[50:51], s[48:49]
	s_cbranch_execz .LBB2_593
; %bb.597:                              ;   in Loop: Header=BB2_594 Depth=2
	s_sleep 1
	s_trap 2
	ds_read_b64 v[20:21], v0
	s_andn2_b64 s[46:47], s[46:47], exec
	s_waitcnt lgkmcnt(0)
	v_cmp_ge_u64_e32 vcc, v[20:21], v[32:33]
	s_orn2_b64 vcc, vcc, exec
	s_branch .LBB2_593
.LBB2_598:                              ;   in Loop: Header=BB2_561 Depth=1
	s_or_b64 exec, exec, s[42:43]
	s_and_saveexec_b64 vcc, s[44:45]
	s_xor_b64 vcc, exec, vcc
	s_cbranch_execz .LBB2_600
; %bb.599:                              ;   in Loop: Header=BB2_561 Depth=1
	ds_write_b32 v0, v56
	s_trap 2
.LBB2_600:                              ;   in Loop: Header=BB2_561 Depth=1
	s_or_b64 exec, exec, s[40:41]
	;;#ASMSTART
	s_wakeup
	;;#ASMEND
.LBB2_601:                              ;   in Loop: Header=BB2_561 Depth=1
	s_or_b64 exec, exec, s[38:39]
.LBB2_602:                              ;   in Loop: Header=BB2_561 Depth=1
	s_andn2_saveexec_b64 vcc, s[36:37]
	s_cbranch_execz .LBB2_604
; %bb.603:                              ;   in Loop: Header=BB2_561 Depth=1
	s_waitcnt lgkmcnt(0)
	s_barrier
.LBB2_604:                              ;   in Loop: Header=BB2_561 Depth=1
	s_or_b64 exec, exec, vcc
.LBB2_605:                              ;   in Loop: Header=BB2_561 Depth=1
	s_or_b64 exec, exec, s[16:17]
	s_trap 2
	ds_read_b32 v2, v0
	v_and_b32_e32 v12, 0x4000, v62
	v_cmp_ne_u32_e32 vcc, 0, v12
	s_and_b64 vcc, s[28:29], vcc
	s_and_saveexec_b64 s[16:17], vcc
	s_cbranch_execz .LBB2_624
; %bb.606:                              ;   in Loop: Header=BB2_561 Depth=1
	s_and_saveexec_b64 vcc, s[26:27]
	s_xor_b64 s[36:37], exec, vcc
	s_cbranch_execz .LBB2_621
; %bb.607:                              ;   in Loop: Header=BB2_561 Depth=1
	s_and_saveexec_b64 s[38:39], s[6:7]
	s_cbranch_execz .LBB2_620
; %bb.608:                              ;   in Loop: Header=BB2_561 Depth=1
	s_mov_b64 s[42:43], exec
	v_mbcnt_lo_u32_b32 v12, s42, 0
	v_mbcnt_hi_u32_b32 v12, s43, v12
	v_cmp_eq_u32_e32 vcc, 0, v12
	s_waitcnt lgkmcnt(0)
	s_and_saveexec_b64 s[40:41], vcc
	s_cbranch_execz .LBB2_610
; %bb.609:                              ;   in Loop: Header=BB2_561 Depth=1
	s_bcnt1_i32_b64 vcc_lo, s[42:43]
	v_mov_b32_e32 v12, vcc_lo
	ds_add_u64 v0, v[12:13]
	s_trap 2
.LBB2_610:                              ;   in Loop: Header=BB2_561 Depth=1
	s_or_b64 exec, exec, s[40:41]
	s_trap 2
	ds_read_b64 v[20:21], v0
	v_lshl_add_u64 v[32:33], v[32:33], 0, v[10:11]
	s_waitcnt lgkmcnt(0)
	v_cmp_lt_u64_e32 vcc, v[20:21], v[32:33]
	s_and_saveexec_b64 s[40:41], vcc
	s_cbranch_execz .LBB2_619
; %bb.611:                              ;   in Loop: Header=BB2_561 Depth=1
	s_mov_b32 s52, 0
	s_mov_b64 s[42:43], 0
                                        ; implicit-def: $sgpr44_sgpr45
                                        ; implicit-def: $sgpr46_sgpr47
	s_branch .LBB2_613
.LBB2_612:                              ;   in Loop: Header=BB2_613 Depth=2
	s_or_b64 exec, exec, s[50:51]
	s_and_b64 vcc, exec, vcc
	s_or_b64 s[42:43], vcc, s[42:43]
	s_andn2_b64 vcc, s[44:45], exec
	s_and_b64 s[44:45], s[46:47], exec
	s_or_b64 s[44:45], vcc, s[44:45]
	s_andn2_b64 exec, exec, s[42:43]
	s_cbranch_execz .LBB2_617
.LBB2_613:                              ;   Parent Loop BB2_561 Depth=1
                                        ; =>  This Inner Loop Header: Depth=2
	s_add_i32 s52, s52, 1
	s_cmpk_lg_i32 s52, 0x2710
	s_cselect_b64 s[48:49], -1, 0
	s_and_b64 vcc, exec, s[48:49]
                                        ; implicit-def: $sgpr50_sgpr51
	s_cbranch_vccnz .LBB2_615
; %bb.614:                              ;   in Loop: Header=BB2_613 Depth=2
	s_trap 2
	ds_read_b64 v[20:21], v0
	s_andn2_b64 s[48:49], s[48:49], exec
	s_mov_b32 s52, 0
	s_mov_b64 s[50:51], -1
	s_waitcnt vmcnt(0) lgkmcnt(0)
	flat_load_dword v12, v[20:21] sc0 sc1
	s_waitcnt vmcnt(0) lgkmcnt(0)
	buffer_inv sc0 sc1
	v_cmp_eq_u32_e32 vcc, 0, v12
	s_and_b64 vcc, vcc, exec
	s_or_b64 s[48:49], s[48:49], vcc
.LBB2_615:                              ;   in Loop: Header=BB2_613 Depth=2
	s_andn2_b64 s[46:47], s[46:47], exec
	s_and_b64 s[50:51], s[50:51], exec
	s_mov_b64 vcc, -1
	s_or_b64 s[46:47], s[46:47], s[50:51]
	s_and_saveexec_b64 s[50:51], s[48:49]
	s_cbranch_execz .LBB2_612
; %bb.616:                              ;   in Loop: Header=BB2_613 Depth=2
	s_sleep 1
	s_trap 2
	ds_read_b64 v[20:21], v0
	s_andn2_b64 s[46:47], s[46:47], exec
	s_waitcnt lgkmcnt(0)
	v_cmp_ge_u64_e32 vcc, v[20:21], v[32:33]
	s_orn2_b64 vcc, vcc, exec
	s_branch .LBB2_612
.LBB2_617:                              ;   in Loop: Header=BB2_561 Depth=1
	s_or_b64 exec, exec, s[42:43]
	s_and_saveexec_b64 vcc, s[44:45]
	s_xor_b64 vcc, exec, vcc
	s_cbranch_execz .LBB2_619
; %bb.618:                              ;   in Loop: Header=BB2_561 Depth=1
	ds_write_b32 v0, v56
	s_trap 2
.LBB2_619:                              ;   in Loop: Header=BB2_561 Depth=1
	s_or_b64 exec, exec, s[40:41]
	;;#ASMSTART
	s_wakeup
	;;#ASMEND
.LBB2_620:                              ;   in Loop: Header=BB2_561 Depth=1
	s_or_b64 exec, exec, s[38:39]
.LBB2_621:                              ;   in Loop: Header=BB2_561 Depth=1
	s_andn2_saveexec_b64 vcc, s[36:37]
	s_cbranch_execz .LBB2_623
; %bb.622:                              ;   in Loop: Header=BB2_561 Depth=1
	s_waitcnt lgkmcnt(0)
	s_barrier
.LBB2_623:                              ;   in Loop: Header=BB2_561 Depth=1
	s_or_b64 exec, exec, vcc
.LBB2_624:                              ;   in Loop: Header=BB2_561 Depth=1
	s_or_b64 exec, exec, s[16:17]
	s_trap 2
	ds_read_b64 v[20:21], v0
	s_waitcnt lgkmcnt(0)
	v_readfirstlane_b32 s16, v20
	v_readfirstlane_b32 s17, v21
	s_cmp_eq_u64 s[16:17], 0
	s_cselect_b64 s[16:17], -1, 0
	s_or_b64 vcc, s[16:17], s[16:17]
	s_mov_b64 s[16:17], 0
	s_and_b64 vcc, exec, vcc
	s_cbranch_vccnz .LBB2_653
; %bb.625:                              ;   in Loop: Header=BB2_561 Depth=1
	s_mov_b64 s[16:17], -1
	s_and_saveexec_b64 s[36:37], s[10:11]
	s_cbranch_execz .LBB2_627
; %bb.626:                              ;   in Loop: Header=BB2_561 Depth=1
	ds_read_b32 v12, v0 offset:720
	s_waitcnt lgkmcnt(0)
	v_and_b32_e32 v12, 15, v12
	v_cmp_eq_u32_e32 vcc, 0, v12
	s_orn2_b64 s[16:17], vcc, exec
.LBB2_627:                              ;   in Loop: Header=BB2_561 Depth=1
	s_or_b64 exec, exec, s[36:37]
	s_and_saveexec_b64 s[36:37], s[12:13]
	s_cbranch_execz .LBB2_629
; %bb.628:                              ;   in Loop: Header=BB2_561 Depth=1
	ds_read_b32 v12, v0 offset:784
	s_waitcnt lgkmcnt(0)
	v_and_b32_e32 v12, 15, v12
	v_cmp_eq_u32_e32 vcc, 0, v12
	s_and_b64 vcc, s[16:17], vcc
	s_andn2_b64 s[16:17], s[16:17], exec
	s_and_b64 vcc, vcc, exec
	s_or_b64 s[16:17], s[16:17], vcc
.LBB2_629:                              ;   in Loop: Header=BB2_561 Depth=1
	s_or_b64 exec, exec, s[36:37]
	v_cmp_eq_u32_e32 vcc, 0, v2
	s_xor_b64 s[16:17], s[16:17], -1
	v_cndmask_b32_e64 v21, 0, 1, s[16:17]
	v_cndmask_b32_e32 v2, 0, v57, vcc
	v_mov_b32_e32 v20, 0
	v_lshlrev_b32_e32 v12, 1, v2
	s_mov_b64 s[38:39], -1
	;;#ASMSTART
	;;#ASMEND
	s_nop 0
	v_cmp_ne_u32_e32 vcc, 0, v21
	s_cbranch_vccz .LBB2_631
; %bb.630:                              ;   in Loop: Header=BB2_561 Depth=1
	v_mov_b32_e32 v21, v0
	v_mov_b32_e32 v42, v30
	s_and_saveexec_b64 s[16:17], s[38:39]
	s_cbranch_execnz .LBB2_644
	s_branch .LBB2_652
.LBB2_631:                              ;   in Loop: Header=BB2_561 Depth=1
	v_lshrrev_b32_e32 v31, 10, v2
	v_sub_u32_e32 v55, v31, v30
	v_cmp_lt_i32_e32 vcc, 0, v55
	s_and_saveexec_b64 s[16:17], vcc
	s_cbranch_execz .LBB2_635
; %bb.632:                              ;   in Loop: Header=BB2_561 Depth=1
	s_trap 2
	ds_read_b64 v[20:21], v0
	v_accvgpr_read_b32 v41, a9
	v_mov_b32_e32 v22, v60
	s_mov_b64 s[36:37], 0
	v_accvgpr_read_b32 v40, a8
.LBB2_633:                              ;   Parent Loop BB2_561 Depth=1
                                        ; =>  This Inner Loop Header: Depth=2
	s_waitcnt lgkmcnt(0)
	v_lshl_add_u64 v[36:37], v[20:21], 0, v[40:41]
	global_load_dwordx4 v[42:45], v[36:37], off nt
	global_load_dwordx4 v[58:61], v[36:37], off offset:1024 nt
	v_sub_u32_e32 v55, v55, v10
	v_cmp_gt_i32_e32 vcc, 1, v55
	v_lshl_add_u64 v[40:41], v[40:41], 0, v[16:17]
	s_or_b64 s[36:37], vcc, s[36:37]
	s_waitcnt vmcnt(0)
	global_store_dwordx4 v[36:37], v[42:45], off nt
	global_store_dwordx4 v[36:37], v[58:61], off offset:1024 nt
	s_andn2_b64 exec, exec, s[36:37]
	s_cbranch_execnz .LBB2_633
; %bb.634:                              ;   in Loop: Header=BB2_561 Depth=1
	s_or_b64 exec, exec, s[36:37]
	v_accvgpr_read_b32 v59, a7
	v_mov_b32_e32 v60, v22
	v_accvgpr_read_b32 v58, a6
.LBB2_635:                              ;   in Loop: Header=BB2_561 Depth=1
	s_or_b64 exec, exec, s[16:17]
	v_lshlrev_b32_e32 v31, 11, v31
	v_cmp_ne_u32_e32 vcc, v12, v31
	s_mov_b64 s[38:39], 0
	v_mov_b32_e32 v20, 0
                                        ; implicit-def: $vgpr21
                                        ; implicit-def: $vgpr42
	s_and_saveexec_b64 s[36:37], vcc
	s_cbranch_execz .LBB2_643
; %bb.636:                              ;   in Loop: Header=BB2_561 Depth=1
	v_lshlrev_b32_e32 v20, 6, v55
	v_sub_u32_e32 v20, v3, v20
	v_sub_u32_e32 v22, v12, v31
	v_ashrrev_i32_e32 v21, 31, v20
	v_lshrrev_b32_e32 v21, 26, v21
	v_ashrrev_i32_e32 v36, 31, v22
	v_add_u32_e32 v21, v20, v21
	v_lshrrev_b32_e32 v36, 22, v36
	v_ashrrev_i32_e32 v23, 6, v21
	v_and_b32_e32 v21, 0xffffffc0, v21
	v_add_u32_e32 v36, v22, v36
	v_sub_u32_e32 v55, v20, v21
	v_and_b32_e32 v44, 0xfffffc00, v36
	v_lshlrev_b32_e32 v20, 4, v55
	v_sub_u32_e32 v58, v22, v44
	v_lshl_add_u32 v21, v23, 10, v20
	v_ashrrev_i32_e32 v37, 10, v36
	v_cmp_lt_i32_e32 vcc, 15, v58
	v_sub_u32_e32 v20, v22, v21
	s_nop 0
	v_addc_co_u32_e64 v22, s[16:17], 0, v37, vcc
	v_sub_u32_e32 v45, v22, v23
	v_cmp_lt_i32_e64 s[16:17], 15, v20
	s_and_saveexec_b64 s[38:39], s[16:17]
	s_cbranch_execz .LBB2_640
; %bb.637:                              ;   in Loop: Header=BB2_561 Depth=1
	s_trap 2
	ds_read_b64 v[40:41], v0
	v_add_u32_e32 v42, v21, v31
	v_mov_b32_e32 v22, v60
	v_ashrrev_i32_e32 v43, 31, v42
	s_mov_b64 s[40:41], 0
.LBB2_638:                              ;   Parent Loop BB2_561 Depth=1
                                        ; =>  This Inner Loop Header: Depth=2
	s_waitcnt lgkmcnt(0)
	v_lshl_add_u64 v[60:61], v[40:41], 0, v[42:43]
	global_load_dwordx4 v[36:39], v[60:61], off nt
	v_sub_u32_e32 v20, v20, v46
	v_cmp_gt_i32_e64 s[16:17], 16, v20
	v_sub_u32_e32 v45, v45, v10
	v_lshl_add_u64 v[42:43], v[42:43], 0, v[14:15]
	s_or_b64 s[40:41], s[16:17], s[40:41]
	s_waitcnt vmcnt(0)
	global_store_dwordx4 v[60:61], v[36:39], off nt
	s_andn2_b64 exec, exec, s[40:41]
	s_cbranch_execnz .LBB2_638
; %bb.639:                              ;   in Loop: Header=BB2_561 Depth=1
	s_or_b64 exec, exec, s[40:41]
	v_mov_b32_e32 v60, v22
.LBB2_640:                              ;   in Loop: Header=BB2_561 Depth=1
	s_or_b64 exec, exec, s[38:39]
	v_and_b32_e32 v40, 14, v12
	v_cndmask_b32_e32 v12, v58, v40, vcc
	v_cmp_ne_u32_e64 s[16:17], 0, v12
	s_mov_b64 s[38:39], 0
	v_mov_b32_e32 v20, 0
                                        ; implicit-def: $vgpr21
                                        ; implicit-def: $vgpr42
	s_and_saveexec_b64 s[40:41], s[16:17]
	s_cbranch_execz .LBB2_642
; %bb.641:                              ;   in Loop: Header=BB2_561 Depth=1
	v_sub_u32_e32 v20, v58, v40
	v_cndmask_b32_e32 v20, 0, v20, vcc
	v_cmp_lt_i32_e32 vcc, 0, v45
	s_mov_b64 s[38:39], exec
	v_add3_u32 v20, v44, v31, v20
	v_cndmask_b32_e32 v21, 0, v10, vcc
	v_sub_u32_e32 v21, v21, v45
	v_lshl_add_u32 v21, v21, 6, v55
	v_ashrrev_i32_e32 v22, 31, v21
	v_lshrrev_b32_e32 v22, 26, v22
	v_add_u32_e32 v22, v21, v22
	v_ashrrev_i32_e32 v42, 6, v22
.LBB2_642:                              ;   in Loop: Header=BB2_561 Depth=1
	s_or_b64 exec, exec, s[40:41]
	v_accvgpr_read_b32 v59, a7
	s_and_b64 s[38:39], s[38:39], exec
	v_accvgpr_read_b32 v58, a6
.LBB2_643:                              ;   in Loop: Header=BB2_561 Depth=1
	s_or_b64 exec, exec, s[36:37]
	s_and_saveexec_b64 s[16:17], s[38:39]
	s_cbranch_execz .LBB2_652
.LBB2_644:                              ;   in Loop: Header=BB2_561 Depth=1
	v_ashrrev_i32_e32 v22, 31, v12
	v_lshrrev_b32_e32 v22, 23, v22
	v_add_u32_e32 v22, v12, v22
	v_ashrrev_i32_e32 v58, 9, v22
	v_sub_u32_e32 v31, v58, v42
	v_ashrrev_i32_e32 v22, 31, v21
	v_cmp_lt_i32_e32 vcc, 0, v31
	v_lshrrev_b32_e32 v55, 26, v22
	s_and_saveexec_b64 s[36:37], vcc
	s_cbranch_execz .LBB2_648
; %bb.645:                              ;   in Loop: Header=BB2_561 Depth=1
	s_trap 2
	ds_read_b64 v[40:41], v0
	v_add_u32_e32 v22, v21, v55
	v_and_b32_e32 v22, 0x7fffffc0, v22
	v_sub_u32_e32 v22, v21, v22
	v_lshlrev_b32_e32 v22, 1, v22
	v_lshlrev_b32_e32 v23, 9, v42
	v_add3_u32 v42, v22, v20, v23
	v_ashrrev_i32_e32 v43, 31, v42
	s_mov_b64 s[38:39], 0
	s_waitcnt lgkmcnt(0)
	v_mov_b64_e32 v[44:45], v[40:41]
.LBB2_646:                              ;   Parent Loop BB2_561 Depth=1
                                        ; =>  This Inner Loop Header: Depth=2
	v_lshl_add_u64 v[36:37], v[42:43], 0, v[44:45]
	flat_load_ushort v22, v[36:37] nt
	flat_load_ushort v23, v[36:37] offset:128 nt
	flat_load_ushort v38, v[36:37] offset:256 nt
	;; [unrolled: 1-line block ×3, first 2 shown]
	v_sub_u32_e32 v31, v31, v10
	v_cmp_gt_i32_e32 vcc, 1, v31
	v_lshl_add_u64 v[36:37], v[42:43], 0, v[40:41]
	v_lshl_add_u64 v[44:45], v[44:45], 0, v[48:49]
	;; [unrolled: 1-line block ×3, first 2 shown]
	s_or_b64 s[38:39], vcc, s[38:39]
	s_waitcnt vmcnt(0) lgkmcnt(0)
	flat_store_short v[36:37], v22 nt
	flat_store_short v[36:37], v23 offset:128 nt
	flat_store_short v[36:37], v38 offset:256 nt
	;; [unrolled: 1-line block ×3, first 2 shown]
	s_andn2_b64 exec, exec, s[38:39]
	s_cbranch_execnz .LBB2_646
; %bb.647:                              ;   in Loop: Header=BB2_561 Depth=1
	s_or_b64 exec, exec, s[38:39]
.LBB2_648:                              ;   in Loop: Header=BB2_561 Depth=1
	s_or_b64 exec, exec, s[36:37]
	v_lshlrev_b32_e32 v40, 9, v58
	v_cmp_ne_u32_e32 vcc, v12, v40
	v_accvgpr_read_b32 v59, a7
	s_and_b64 vcc, exec, vcc
	v_accvgpr_read_b32 v58, a6
	s_mov_b64 exec, vcc
	s_cbranch_execz .LBB2_652
; %bb.649:                              ;   in Loop: Header=BB2_561 Depth=1
	v_add_u32_e32 v22, v21, v55
	v_and_b32_e32 v22, 0xffffffc0, v22
	v_sub_u32_e32 v21, v21, v22
	v_lshlrev_b32_e32 v22, 6, v31
	v_sub_u32_e32 v21, v21, v22
	v_ashrrev_i32_e32 v22, 31, v21
	v_lshrrev_b32_e32 v22, 26, v22
	v_add_u32_e32 v22, v21, v22
	v_and_b32_e32 v23, 0x7fffffc0, v22
	v_sub_u32_e32 v21, v21, v23
	v_lshlrev_b32_e32 v22, 1, v22
	v_and_b32_e32 v22, 0xffffff80, v22
	v_lshlrev_b32_e32 v21, 1, v21
	v_add3_u32 v21, v22, v21, v40
	v_sub_u32_e32 v12, v12, v21
	v_cmp_lt_i32_e32 vcc, 1, v12
	s_and_b64 exec, exec, vcc
	s_cbranch_execz .LBB2_652
; %bb.650:                              ;   in Loop: Header=BB2_561 Depth=1
	s_trap 2
	ds_read_b64 v[40:41], v0
	v_add_u32_e32 v42, v21, v20
	v_ashrrev_i32_e32 v43, 31, v42
	s_mov_b64 s[36:37], 0
.LBB2_651:                              ;   Parent Loop BB2_561 Depth=1
                                        ; =>  This Inner Loop Header: Depth=2
	s_waitcnt lgkmcnt(0)
	v_lshl_add_u64 v[20:21], v[40:41], 0, v[42:43]
	flat_load_ushort v22, v[20:21] nt
	v_sub_u32_e32 v12, v12, v47
	v_cmp_gt_i32_e32 vcc, 2, v12
	v_lshl_add_u64 v[42:43], v[42:43], 0, v[50:51]
	s_or_b64 s[36:37], vcc, s[36:37]
	s_waitcnt vmcnt(0) lgkmcnt(0)
	flat_store_short v[20:21], v22 nt
	s_andn2_b64 exec, exec, s[36:37]
	s_cbranch_execnz .LBB2_651
.LBB2_652:                              ;   in Loop: Header=BB2_561 Depth=1
	s_or_b64 exec, exec, s[16:17]
	v_cmp_ne_u32_e64 s[16:17], 0, v2
.LBB2_653:                              ;   in Loop: Header=BB2_561 Depth=1
	s_and_saveexec_b64 s[36:37], s[4:5]
	s_cbranch_execz .LBB2_672
; %bb.654:                              ;   in Loop: Header=BB2_561 Depth=1
	s_and_saveexec_b64 vcc, s[26:27]
	s_xor_b64 s[38:39], exec, vcc
	s_cbranch_execz .LBB2_669
; %bb.655:                              ;   in Loop: Header=BB2_561 Depth=1
	s_and_saveexec_b64 s[40:41], s[6:7]
	s_cbranch_execz .LBB2_668
; %bb.656:                              ;   in Loop: Header=BB2_561 Depth=1
	s_mov_b64 s[44:45], exec
	v_mbcnt_lo_u32_b32 v2, s44, 0
	v_mbcnt_hi_u32_b32 v2, s45, v2
	v_cmp_eq_u32_e32 vcc, 0, v2
	s_waitcnt lgkmcnt(0)
	s_and_saveexec_b64 s[42:43], vcc
	s_cbranch_execz .LBB2_658
; %bb.657:                              ;   in Loop: Header=BB2_561 Depth=1
	s_bcnt1_i32_b64 vcc_lo, s[44:45]
	v_mov_b32_e32 v12, vcc_lo
	ds_add_u64 v0, v[12:13]
	s_trap 2
.LBB2_658:                              ;   in Loop: Header=BB2_561 Depth=1
	s_or_b64 exec, exec, s[42:43]
	s_trap 2
	ds_read_b64 v[20:21], v0
	v_lshl_add_u64 v[32:33], v[32:33], 0, v[10:11]
	s_waitcnt lgkmcnt(0)
	v_cmp_lt_u64_e32 vcc, v[20:21], v[32:33]
	s_and_saveexec_b64 s[42:43], vcc
	s_cbranch_execz .LBB2_667
; %bb.659:                              ;   in Loop: Header=BB2_561 Depth=1
	s_mov_b32 s56, 0
	s_mov_b64 s[44:45], 0
                                        ; implicit-def: $sgpr46_sgpr47
                                        ; implicit-def: $sgpr48_sgpr49
	s_branch .LBB2_661
.LBB2_660:                              ;   in Loop: Header=BB2_661 Depth=2
	s_or_b64 exec, exec, s[52:53]
	s_and_b64 vcc, exec, vcc
	s_or_b64 s[44:45], vcc, s[44:45]
	s_andn2_b64 vcc, s[46:47], exec
	s_and_b64 s[46:47], s[48:49], exec
	s_or_b64 s[46:47], vcc, s[46:47]
	s_andn2_b64 exec, exec, s[44:45]
	s_cbranch_execz .LBB2_665
.LBB2_661:                              ;   Parent Loop BB2_561 Depth=1
                                        ; =>  This Inner Loop Header: Depth=2
	s_add_i32 s56, s56, 1
	s_cmpk_lg_i32 s56, 0x2710
	s_cselect_b64 s[50:51], -1, 0
	s_and_b64 vcc, exec, s[50:51]
                                        ; implicit-def: $sgpr52_sgpr53
	s_cbranch_vccnz .LBB2_663
; %bb.662:                              ;   in Loop: Header=BB2_661 Depth=2
	s_trap 2
	ds_read_b64 v[20:21], v0
	s_andn2_b64 s[50:51], s[50:51], exec
	s_mov_b32 s56, 0
	s_mov_b64 s[52:53], -1
	s_waitcnt vmcnt(0) lgkmcnt(0)
	flat_load_dword v2, v[20:21] sc0 sc1
	s_waitcnt vmcnt(0) lgkmcnt(0)
	buffer_inv sc0 sc1
	v_cmp_eq_u32_e32 vcc, 0, v2
	s_and_b64 vcc, vcc, exec
	s_or_b64 s[50:51], s[50:51], vcc
.LBB2_663:                              ;   in Loop: Header=BB2_661 Depth=2
	s_andn2_b64 s[48:49], s[48:49], exec
	s_and_b64 s[52:53], s[52:53], exec
	s_mov_b64 vcc, -1
	s_or_b64 s[48:49], s[48:49], s[52:53]
	s_and_saveexec_b64 s[52:53], s[50:51]
	s_cbranch_execz .LBB2_660
; %bb.664:                              ;   in Loop: Header=BB2_661 Depth=2
	s_sleep 1
	s_trap 2
	ds_read_b64 v[20:21], v0
	s_andn2_b64 s[48:49], s[48:49], exec
	s_waitcnt lgkmcnt(0)
	v_cmp_ge_u64_e32 vcc, v[20:21], v[32:33]
	s_orn2_b64 vcc, vcc, exec
	s_branch .LBB2_660
.LBB2_665:                              ;   in Loop: Header=BB2_561 Depth=1
	s_or_b64 exec, exec, s[44:45]
	s_and_saveexec_b64 vcc, s[46:47]
	s_xor_b64 vcc, exec, vcc
	s_cbranch_execz .LBB2_667
; %bb.666:                              ;   in Loop: Header=BB2_561 Depth=1
	ds_write_b32 v0, v56
	s_trap 2
.LBB2_667:                              ;   in Loop: Header=BB2_561 Depth=1
	s_or_b64 exec, exec, s[42:43]
	;;#ASMSTART
	s_wakeup
	;;#ASMEND
.LBB2_668:                              ;   in Loop: Header=BB2_561 Depth=1
	s_or_b64 exec, exec, s[40:41]
.LBB2_669:                              ;   in Loop: Header=BB2_561 Depth=1
	s_andn2_saveexec_b64 vcc, s[38:39]
	s_cbranch_execz .LBB2_671
; %bb.670:                              ;   in Loop: Header=BB2_561 Depth=1
	s_waitcnt lgkmcnt(0)
	s_barrier
.LBB2_671:                              ;   in Loop: Header=BB2_561 Depth=1
	s_or_b64 exec, exec, vcc
.LBB2_672:                              ;   in Loop: Header=BB2_561 Depth=1
	s_or_b64 exec, exec, s[36:37]
	v_and_b32_e32 v2, 16, v62
	v_cmp_ne_u32_e32 vcc, 0, v2
	s_and_b64 vcc, vcc, s[16:17]
	s_and_saveexec_b64 s[16:17], vcc
	s_cbranch_execz .LBB2_674
; %bb.673:                              ;   in Loop: Header=BB2_561 Depth=1
	buffer_wbl2 sc1
	s_waitcnt vmcnt(0) lgkmcnt(0)
	buffer_inv sc1
.LBB2_674:                              ;   in Loop: Header=BB2_561 Depth=1
	s_or_b64 exec, exec, s[16:17]
	v_cmp_ne_u32_e32 vcc, 0, v2
	s_and_saveexec_b64 s[16:17], vcc
	s_cbranch_execz .LBB2_678
; %bb.675:                              ;   in Loop: Header=BB2_561 Depth=1
	s_and_saveexec_b64 vcc, s[14:15]
	s_cbranch_execz .LBB2_677
; %bb.676:                              ;   in Loop: Header=BB2_561 Depth=1
	flat_store_dword v[58:59], v56 sc0 sc1
.LBB2_677:                              ;   in Loop: Header=BB2_561 Depth=1
	s_or_b64 exec, exec, vcc
	v_lshl_add_u64 v[8:9], v[8:9], 0, 1
	flat_store_dwordx2 v[24:25], v[8:9] sc0 sc1
.LBB2_678:                              ;   in Loop: Header=BB2_561 Depth=1
	s_or_b64 exec, exec, s[16:17]
	v_mov_b32_e32 v2, v57
.LBB2_679:                              ;   in Loop: Header=BB2_561 Depth=1
	s_or_b64 exec, exec, s[34:35]
	s_and_saveexec_b64 s[34:35], s[30:31]
	s_cbranch_execz .LBB2_560
; %bb.680:                              ;   in Loop: Header=BB2_561 Depth=1
	v_and_b32_e32 v12, 8, v62
	v_cmp_ne_u32_e32 vcc, 0, v12
	s_mov_b64 s[30:31], -1
	v_lshl_add_u64 v[40:41], v[8:9], 0, 1
	s_and_saveexec_b64 s[16:17], vcc
	s_cbranch_execz .LBB2_692
; %bb.681:                              ;   in Loop: Header=BB2_561 Depth=1
	v_lshl_add_u64 v[20:21], v[28:29], 0, 8
	v_lshl_add_u64 v[42:43], v[8:9], 0, 1
	v_cmp_lt_u64_e32 vcc, v[20:21], v[42:43]
	v_mov_b32_e32 v12, 1
	s_and_saveexec_b64 s[30:31], vcc
	s_cbranch_execz .LBB2_691
; %bb.682:                              ;   in Loop: Header=BB2_561 Depth=1
	s_mov_b64 s[36:37], 0
	v_mov_b32_e32 v12, 0
                                        ; implicit-def: $sgpr38_sgpr39
	s_branch .LBB2_686
.LBB2_683:                              ;   in Loop: Header=BB2_686 Depth=2
	s_or_b64 exec, exec, s[46:47]
	v_mov_b32_e32 v20, 0
	s_orn2_b64 s[44:45], s[44:45], exec
.LBB2_684:                              ;   in Loop: Header=BB2_686 Depth=2
	s_or_b64 exec, exec, s[42:43]
	s_andn2_b64 vcc, s[38:39], exec
	s_and_b64 s[38:39], s[44:45], exec
	s_or_b64 s[38:39], vcc, s[38:39]
	v_mov_b32_e32 v12, v20
.LBB2_685:                              ;   in Loop: Header=BB2_686 Depth=2
	s_or_b64 exec, exec, s[40:41]
	s_waitcnt vmcnt(0) lgkmcnt(0)
	v_lshl_add_u64 v[20:21], v[28:29], 0, 8
	v_cmp_ge_u64_e32 vcc, v[20:21], v[42:43]
	s_xor_b64 s[40:41], s[38:39], -1
	s_or_b64 vcc, s[40:41], vcc
	s_and_b64 vcc, exec, vcc
	s_or_b64 s[36:37], vcc, s[36:37]
	s_andn2_b64 exec, exec, s[36:37]
	s_cbranch_execz .LBB2_690
.LBB2_686:                              ;   Parent Loop BB2_561 Depth=1
                                        ; =>  This Inner Loop Header: Depth=2
	s_sleep 1
	flat_load_dwordx2 v[28:29], v[24:25] sc0 sc1
	v_and_b32_e32 v20, 64, v62
	v_cmp_eq_u32_e32 vcc, 0, v20
	s_andn2_b64 s[38:39], s[38:39], exec
	s_and_saveexec_b64 s[40:41], vcc
	s_cbranch_execz .LBB2_685
; %bb.687:                              ;   in Loop: Header=BB2_686 Depth=2
	v_add_u32_e32 v20, 1, v12
	v_cmp_lt_i32_e32 vcc, s55, v12
	s_mov_b64 s[44:45], -1
	s_and_saveexec_b64 s[42:43], vcc
	s_cbranch_execz .LBB2_684
; %bb.688:                              ;   in Loop: Header=BB2_686 Depth=2
	s_trap 2
	ds_read_b64 v[20:21], v0
	s_waitcnt vmcnt(0) lgkmcnt(0)
	flat_load_dword v12, v[20:21] sc0 sc1
	s_waitcnt vmcnt(0) lgkmcnt(0)
	buffer_inv sc0 sc1
	v_cmp_ne_u32_e32 vcc, 0, v12
	s_and_saveexec_b64 s[46:47], vcc
	s_cbranch_execz .LBB2_683
; %bb.689:                              ;   in Loop: Header=BB2_686 Depth=2
	v_or_b32_e32 v62, 64, v62
	s_xor_b64 s[44:45], exec, -1
	ds_write_b32 v0, v12
	s_trap 2
	s_branch .LBB2_683
.LBB2_690:                              ;   in Loop: Header=BB2_561 Depth=1
	s_or_b64 exec, exec, s[36:37]
	v_and_b32_e32 v12, 8, v62
.LBB2_691:                              ;   in Loop: Header=BB2_561 Depth=1
	s_or_b64 exec, exec, s[30:31]
	v_cmp_eq_u32_e32 vcc, 0, v12
	s_orn2_b64 s[30:31], vcc, exec
	;;#ASMSTART
	s_wakeup
	;;#ASMEND
.LBB2_692:                              ;   in Loop: Header=BB2_561 Depth=1
	s_or_b64 exec, exec, s[16:17]
	v_sub_u32_e32 v2, v54, v2
	s_xor_b64 s[16:17], s[30:31], -1
	v_min_i32_e32 v54, v57, v2
	s_and_saveexec_b64 s[30:31], s[16:17]
	s_cbranch_execz .LBB2_702
; %bb.693:                              ;   in Loop: Header=BB2_561 Depth=1
	v_and_b32_e32 v2, 0x100, v62
	v_cmp_ne_u32_e32 vcc, 0, v2
	v_and_b32_e32 v2, 7, v8
	s_mov_b64 s[16:17], -1
                                        ; implicit-def: $vgpr8_vgpr9
	s_and_saveexec_b64 s[36:37], vcc
	s_cbranch_execz .LBB2_697
; %bb.694:                              ;   in Loop: Header=BB2_561 Depth=1
	v_mad_u64_u32 v[20:21], s[16:17], v2, 24, v[6:7]
	flat_load_dword v12, v[20:21]
	v_ashrrev_i32_e32 v55, 31, v54
	v_lshlrev_b64 v[8:9], 1, v[54:55]
	flat_store_dwordx2 v[20:21], v[8:9] offset:8
                                        ; implicit-def: $vgpr8_vgpr9
	s_waitcnt vmcnt(0) lgkmcnt(0)
	v_cmp_ne_u32_e32 vcc, 1, v12
	v_cmp_eq_u32_e64 s[16:17], 1, v12
	s_and_saveexec_b64 s[38:39], s[16:17]
	s_cbranch_execz .LBB2_696
; %bb.695:                              ;   in Loop: Header=BB2_561 Depth=1
	flat_load_dword v8, v[20:21] offset:4 sc0 sc1
	s_waitcnt vmcnt(0) lgkmcnt(0)
	v_ashrrev_i32_e32 v9, 31, v8
	v_lshrrev_b64 v[8:9], 1, v[8:9]
.LBB2_696:                              ;   in Loop: Header=BB2_561 Depth=1
	s_or_b64 exec, exec, s[38:39]
	s_orn2_b64 s[16:17], vcc, exec
.LBB2_697:                              ;   in Loop: Header=BB2_561 Depth=1
	s_or_b64 exec, exec, s[36:37]
	s_and_saveexec_b64 vcc, s[16:17]
; %bb.698:                              ;   in Loop: Header=BB2_561 Depth=1
	v_mad_i64_i32 v[8:9], s[16:17], v2, v60, 0
; %bb.699:                              ;   in Loop: Header=BB2_561 Depth=1
	s_or_b64 exec, exec, vcc
	v_and_b32_e32 v2, 0x2000, v62
	v_lshl_add_u64 v[8:9], v[8:9], 1, v[26:27]
	v_cmp_ne_u32_e32 vcc, 0, v2
	ds_write_b64 v0, v[8:9] offset:784
	s_and_saveexec_b64 s[16:17], vcc
	s_cbranch_execz .LBB2_701
; %bb.700:                              ;   in Loop: Header=BB2_561 Depth=1
	ds_read_b64 v[8:9], v0 offset:584
	s_waitcnt lgkmcnt(0)
	v_lshl_add_u64 v[8:9], v[8:9], 0, 1
	ds_write_b64 v0, v[8:9] offset:584
.LBB2_701:                              ;   in Loop: Header=BB2_561 Depth=1
	s_or_b64 exec, exec, s[16:17]
	v_mov_b64_e32 v[8:9], v[40:41]
.LBB2_702:                              ;   in Loop: Header=BB2_561 Depth=1
	s_or_b64 exec, exec, s[30:31]
	s_and_saveexec_b64 s[16:17], s[4:5]
	s_cbranch_execz .LBB2_721
; %bb.703:                              ;   in Loop: Header=BB2_561 Depth=1
	s_and_saveexec_b64 vcc, s[26:27]
	s_xor_b64 s[30:31], exec, vcc
	s_cbranch_execz .LBB2_718
; %bb.704:                              ;   in Loop: Header=BB2_561 Depth=1
	s_and_saveexec_b64 s[36:37], s[6:7]
	s_cbranch_execz .LBB2_717
; %bb.705:                              ;   in Loop: Header=BB2_561 Depth=1
	s_mov_b64 s[40:41], exec
	v_mbcnt_lo_u32_b32 v2, s40, 0
	v_mbcnt_hi_u32_b32 v2, s41, v2
	v_cmp_eq_u32_e32 vcc, 0, v2
	s_waitcnt lgkmcnt(0)
	s_and_saveexec_b64 s[38:39], vcc
	s_cbranch_execz .LBB2_707
; %bb.706:                              ;   in Loop: Header=BB2_561 Depth=1
	s_bcnt1_i32_b64 vcc_lo, s[40:41]
	v_mov_b32_e32 v12, vcc_lo
	ds_add_u64 v0, v[12:13]
	s_trap 2
.LBB2_707:                              ;   in Loop: Header=BB2_561 Depth=1
	s_or_b64 exec, exec, s[38:39]
	s_trap 2
	ds_read_b64 v[20:21], v0
	v_lshl_add_u64 v[32:33], v[32:33], 0, v[10:11]
	s_waitcnt lgkmcnt(0)
	v_cmp_lt_u64_e32 vcc, v[20:21], v[32:33]
	s_and_saveexec_b64 s[38:39], vcc
	s_cbranch_execz .LBB2_716
; %bb.708:                              ;   in Loop: Header=BB2_561 Depth=1
	s_mov_b32 s50, 0
	s_mov_b64 s[40:41], 0
                                        ; implicit-def: $sgpr42_sgpr43
                                        ; implicit-def: $sgpr44_sgpr45
	s_branch .LBB2_710
.LBB2_709:                              ;   in Loop: Header=BB2_710 Depth=2
	s_or_b64 exec, exec, s[48:49]
	s_and_b64 vcc, exec, vcc
	s_or_b64 s[40:41], vcc, s[40:41]
	s_andn2_b64 vcc, s[42:43], exec
	s_and_b64 s[42:43], s[44:45], exec
	s_or_b64 s[42:43], vcc, s[42:43]
	s_andn2_b64 exec, exec, s[40:41]
	s_cbranch_execz .LBB2_714
.LBB2_710:                              ;   Parent Loop BB2_561 Depth=1
                                        ; =>  This Inner Loop Header: Depth=2
	s_add_i32 s50, s50, 1
	s_cmpk_lg_i32 s50, 0x2710
	s_cselect_b64 s[46:47], -1, 0
	s_and_b64 vcc, exec, s[46:47]
                                        ; implicit-def: $sgpr48_sgpr49
	s_cbranch_vccnz .LBB2_712
; %bb.711:                              ;   in Loop: Header=BB2_710 Depth=2
	s_trap 2
	ds_read_b64 v[20:21], v0
	s_andn2_b64 s[46:47], s[46:47], exec
	s_mov_b32 s50, 0
	s_mov_b64 s[48:49], -1
	s_waitcnt vmcnt(0) lgkmcnt(0)
	flat_load_dword v2, v[20:21] sc0 sc1
	s_waitcnt vmcnt(0) lgkmcnt(0)
	buffer_inv sc0 sc1
	v_cmp_eq_u32_e32 vcc, 0, v2
	s_and_b64 vcc, vcc, exec
	s_or_b64 s[46:47], s[46:47], vcc
.LBB2_712:                              ;   in Loop: Header=BB2_710 Depth=2
	s_andn2_b64 s[44:45], s[44:45], exec
	s_and_b64 s[48:49], s[48:49], exec
	s_mov_b64 vcc, -1
	s_or_b64 s[44:45], s[44:45], s[48:49]
	s_and_saveexec_b64 s[48:49], s[46:47]
	s_cbranch_execz .LBB2_709
; %bb.713:                              ;   in Loop: Header=BB2_710 Depth=2
	s_sleep 1
	s_trap 2
	ds_read_b64 v[20:21], v0
	s_andn2_b64 s[44:45], s[44:45], exec
	s_waitcnt lgkmcnt(0)
	v_cmp_ge_u64_e32 vcc, v[20:21], v[32:33]
	s_orn2_b64 vcc, vcc, exec
	s_branch .LBB2_709
.LBB2_714:                              ;   in Loop: Header=BB2_561 Depth=1
	s_or_b64 exec, exec, s[40:41]
	s_and_saveexec_b64 vcc, s[42:43]
	s_xor_b64 vcc, exec, vcc
	s_cbranch_execz .LBB2_716
; %bb.715:                              ;   in Loop: Header=BB2_561 Depth=1
	ds_write_b32 v0, v56
	s_trap 2
.LBB2_716:                              ;   in Loop: Header=BB2_561 Depth=1
	s_or_b64 exec, exec, s[38:39]
	;;#ASMSTART
	s_wakeup
	;;#ASMEND
.LBB2_717:                              ;   in Loop: Header=BB2_561 Depth=1
	s_or_b64 exec, exec, s[36:37]
.LBB2_718:                              ;   in Loop: Header=BB2_561 Depth=1
	s_andn2_saveexec_b64 vcc, s[30:31]
	s_cbranch_execz .LBB2_720
; %bb.719:                              ;   in Loop: Header=BB2_561 Depth=1
	s_waitcnt lgkmcnt(0)
	s_barrier
.LBB2_720:                              ;   in Loop: Header=BB2_561 Depth=1
	s_or_b64 exec, exec, vcc
.LBB2_721:                              ;   in Loop: Header=BB2_561 Depth=1
	s_or_b64 exec, exec, s[16:17]
	s_trap 2
	ds_read_b32 v12, v0
	v_cmp_lt_i32_e32 vcc, 0, v54
	v_and_b32_e32 v2, 16, v62
	s_waitcnt lgkmcnt(0)
	v_readfirstlane_b32 s16, v12
	s_cmp_eq_u32 s16, 0
	s_cselect_b64 s[16:17], -1, 0
	s_and_b64 s[16:17], vcc, s[16:17]
	v_cmp_ne_u32_e32 vcc, 0, v2
	s_and_b64 vcc, vcc, s[16:17]
	s_and_saveexec_b64 s[16:17], vcc
	s_cbranch_execz .LBB2_723
; %bb.722:                              ;   in Loop: Header=BB2_561 Depth=1
	buffer_wbl2 sc1
	s_waitcnt vmcnt(0)
	buffer_inv sc1
.LBB2_723:                              ;   in Loop: Header=BB2_561 Depth=1
	s_or_b64 exec, exec, s[16:17]
	v_cmp_ne_u32_e32 vcc, 0, v2
	s_and_saveexec_b64 s[16:17], vcc
	s_cbranch_execz .LBB2_559
; %bb.724:                              ;   in Loop: Header=BB2_561 Depth=1
	s_and_saveexec_b64 vcc, s[14:15]
	s_cbranch_execz .LBB2_558
; %bb.725:                              ;   in Loop: Header=BB2_561 Depth=1
	flat_store_dword v[58:59], v56 sc0 sc1
	s_branch .LBB2_558
.LBB2_726:
	s_or_b64 exec, exec, s[24:25]
	v_accvgpr_read_b32 v23, a5
	v_accvgpr_read_b32 v31, a0
	;; [unrolled: 1-line block ×4, first 2 shown]
.LBB2_727:
	s_or_b64 exec, exec, s[22:23]
.LBB2_728:
	s_or_b64 exec, exec, s[18:19]
	v_and_b32_e32 v0, 0x800, v62
	v_cmp_eq_u32_e32 vcc, 0, v0
	s_and_saveexec_b64 s[0:1], vcc
	s_cbranch_execz .LBB2_763
; %bb.729:
	v_and_b32_e32 v0, 48, v62
	v_cmp_ne_u32_e32 vcc, 0, v0
	s_and_saveexec_b64 s[2:3], vcc
	s_cbranch_execz .LBB2_731
; %bb.730:
	s_waitcnt lgkmcnt(0)
	flat_store_dwordx2 v[22:23], v[8:9] offset:104
.LBB2_731:
	s_or_b64 exec, exec, s[2:3]
	s_movk_i32 s2, 0x88
	v_and_b32_e32 v0, 0x88, v62
	v_cmp_eq_u32_e32 vcc, s2, v0
	s_and_saveexec_b64 s[2:3], vcc
	s_cbranch_execz .LBB2_743
; %bb.732:
	s_waitcnt lgkmcnt(0)
	v_add_u32_e32 v0, -1, v8
	v_and_b32_e32 v0, 7, v0
	v_mad_u64_u32 v[2:3], s[4:5], v0, 24, v[6:7]
	v_lshl_add_u64 v[2:3], v[2:3], 0, 8
	s_mov_b64 s[4:5], 0
	v_mov_b32_e32 v0, 0
	s_movk_i32 s22, 0x270e
                                        ; implicit-def: $sgpr6_sgpr7
	s_branch .LBB2_737
.LBB2_733:                              ;   in Loop: Header=BB2_737 Depth=1
	s_or_b64 exec, exec, s[18:19]
	v_mov_b32_e32 v4, 0
	s_orn2_b64 s[16:17], s[16:17], exec
.LBB2_734:                              ;   in Loop: Header=BB2_737 Depth=1
	s_or_b64 exec, exec, s[14:15]
	s_and_b64 s[14:15], s[16:17], exec
	v_mov_b32_e32 v0, v4
.LBB2_735:                              ;   in Loop: Header=BB2_737 Depth=1
	s_or_b64 exec, exec, s[12:13]
	s_xor_b64 s[12:13], s[14:15], -1
	s_andn2_b64 s[6:7], s[6:7], exec
	s_and_b64 s[12:13], s[12:13], exec
	s_or_b64 s[6:7], s[6:7], s[12:13]
.LBB2_736:                              ;   in Loop: Header=BB2_737 Depth=1
	s_or_b64 exec, exec, s[10:11]
	s_and_b64 s[10:11], exec, s[6:7]
	s_or_b64 s[4:5], s[10:11], s[4:5]
	s_andn2_b64 exec, exec, s[4:5]
	s_cbranch_execz .LBB2_742
.LBB2_737:                              ; =>This Inner Loop Header: Depth=1
	flat_load_dwordx2 v[4:5], v[2:3] sc0 sc1
	s_waitcnt vmcnt(0)
	s_or_b64 s[6:7], s[6:7], exec
	s_waitcnt lgkmcnt(0)
	v_cmp_ne_u64_e32 vcc, -1, v[4:5]
	s_and_saveexec_b64 s[10:11], vcc
	s_cbranch_execz .LBB2_736
; %bb.738:                              ;   in Loop: Header=BB2_737 Depth=1
	v_and_b32_e32 v4, 64, v62
	v_cmp_eq_u32_e32 vcc, 0, v4
	s_mov_b64 s[14:15], 0
	s_and_saveexec_b64 s[12:13], vcc
	s_cbranch_execz .LBB2_735
; %bb.739:                              ;   in Loop: Header=BB2_737 Depth=1
	v_add_u32_e32 v4, 1, v0
	v_cmp_lt_i32_e32 vcc, s22, v0
	s_mov_b64 s[16:17], -1
	s_and_saveexec_b64 s[14:15], vcc
	s_cbranch_execz .LBB2_734
; %bb.740:                              ;   in Loop: Header=BB2_737 Depth=1
	s_trap 2
	ds_read_b64 v[4:5], v0
	s_waitcnt lgkmcnt(0)
	flat_load_dword v0, v[4:5] sc0 sc1
	s_waitcnt vmcnt(0) lgkmcnt(0)
	buffer_inv sc0 sc1
	v_cmp_ne_u32_e32 vcc, 0, v0
	s_and_saveexec_b64 s[18:19], vcc
	s_cbranch_execz .LBB2_733
; %bb.741:                              ;   in Loop: Header=BB2_737 Depth=1
	v_or_b32_e32 v62, 64, v62
	s_xor_b64 s[16:17], exec, -1
	ds_write_b32 v0, v0
	s_trap 2
	s_branch .LBB2_733
.LBB2_742:
	s_or_b64 exec, exec, s[4:5]
.LBB2_743:
	s_or_b64 exec, exec, s[2:3]
	v_and_b32_e32 v0, 0x2000, v62
	v_cmp_ne_u32_e32 vcc, 0, v0
	s_and_saveexec_b64 s[2:3], vcc
	s_cbranch_execz .LBB2_745
; %bb.744:
	s_trap 2
	ds_read_b64 v[2:3], v0
	v_accvgpr_read_b32 v5, a3
	v_accvgpr_read_b32 v4, a2
	s_waitcnt lgkmcnt(0)
	flat_store_dwordx2 v[4:5], v[2:3] offset:16
.LBB2_745:
	s_or_b64 exec, exec, s[2:3]
	v_cmp_ne_u32_e32 vcc, 64, v1
	s_and_b64 exec, exec, vcc
	s_cbranch_execz .LBB2_763
; %bb.746:
	v_cmp_ne_u32_sdwa s[2:3], v21, v1 src0_sel:WORD_0 src1_sel:DWORD
	s_and_saveexec_b64 s[4:5], s[2:3]
	s_xor_b64 s[2:3], exec, s[4:5]
	s_cbranch_execz .LBB2_761
; %bb.747:
	v_and_b32_e32 v0, 63, v31
	v_cmp_eq_u32_e32 vcc, 0, v0
	s_and_saveexec_b64 s[4:5], vcc
	s_cbranch_execz .LBB2_760
; %bb.748:
	s_mov_b64 s[10:11], exec
	v_mbcnt_lo_u32_b32 v0, s10, 0
	v_mbcnt_hi_u32_b32 v0, s11, v0
	v_cmp_eq_u32_e32 vcc, 0, v0
	s_waitcnt lgkmcnt(0)
	s_and_saveexec_b64 s[6:7], vcc
	s_cbranch_execz .LBB2_750
; %bb.749:
	s_bcnt1_i32_b64 s10, s[10:11]
	v_mov_b32_e32 v2, s10
	v_mov_b32_e32 v3, 0
	ds_add_u64 v0, v[2:3]
	s_trap 2
.LBB2_750:
	s_or_b64 exec, exec, s[6:7]
	v_ashrrev_i32_e32 v0, 31, v1
	v_lshrrev_b32_e32 v0, 26, v0
	s_trap 2
	ds_read_b64 v[2:3], v0
	v_add_u32_e32 v0, v1, v0
	v_ashrrev_i32_e32 v0, 6, v0
	v_ashrrev_i32_e32 v1, 31, v0
	v_lshl_add_u64 v[0:1], v[32:33], 0, v[0:1]
	s_waitcnt lgkmcnt(0)
	v_cmp_lt_u64_e32 vcc, v[2:3], v[0:1]
	s_and_saveexec_b64 s[6:7], vcc
	s_cbranch_execz .LBB2_759
; %bb.751:
	s_mov_b32 s24, 0
	s_mov_b64 s[10:11], 0
                                        ; implicit-def: $sgpr12_sgpr13
                                        ; implicit-def: $sgpr14_sgpr15
	s_branch .LBB2_753
.LBB2_752:                              ;   in Loop: Header=BB2_753 Depth=1
	s_or_b64 exec, exec, s[22:23]
	s_and_b64 s[16:17], exec, s[18:19]
	s_or_b64 s[10:11], s[16:17], s[10:11]
	s_andn2_b64 s[12:13], s[12:13], exec
	s_and_b64 s[16:17], s[14:15], exec
	s_or_b64 s[12:13], s[12:13], s[16:17]
	s_andn2_b64 exec, exec, s[10:11]
	s_cbranch_execz .LBB2_757
.LBB2_753:                              ; =>This Inner Loop Header: Depth=1
	s_add_i32 s24, s24, 1
	s_cmpk_lg_i32 s24, 0x2710
	s_cselect_b64 s[16:17], -1, 0
	s_and_b64 vcc, exec, s[16:17]
                                        ; implicit-def: $sgpr22_sgpr23
	s_cbranch_vccnz .LBB2_755
; %bb.754:                              ;   in Loop: Header=BB2_753 Depth=1
	s_trap 2
	ds_read_b64 v[2:3], v0
	s_andn2_b64 s[16:17], s[16:17], exec
	s_mov_b32 s24, 0
	s_mov_b64 s[22:23], -1
	s_waitcnt vmcnt(0) lgkmcnt(0)
	flat_load_dword v2, v[2:3] sc0 sc1
	s_waitcnt vmcnt(0) lgkmcnt(0)
	buffer_inv sc0 sc1
	v_cmp_eq_u32_e32 vcc, 0, v2
	s_and_b64 s[18:19], vcc, exec
	s_or_b64 s[16:17], s[16:17], s[18:19]
.LBB2_755:                              ;   in Loop: Header=BB2_753 Depth=1
	s_andn2_b64 s[14:15], s[14:15], exec
	s_and_b64 s[22:23], s[22:23], exec
	s_mov_b64 s[18:19], -1
	s_or_b64 s[14:15], s[14:15], s[22:23]
	s_and_saveexec_b64 s[22:23], s[16:17]
	s_cbranch_execz .LBB2_752
; %bb.756:                              ;   in Loop: Header=BB2_753 Depth=1
	s_sleep 1
	s_trap 2
	ds_read_b64 v[2:3], v0
	s_andn2_b64 s[14:15], s[14:15], exec
	s_waitcnt lgkmcnt(0)
	v_cmp_ge_u64_e32 vcc, v[2:3], v[0:1]
	s_orn2_b64 s[18:19], vcc, exec
	s_branch .LBB2_752
.LBB2_757:
	s_or_b64 exec, exec, s[10:11]
	s_and_saveexec_b64 s[10:11], s[12:13]
	s_xor_b64 s[10:11], exec, s[10:11]
	s_cbranch_execz .LBB2_759
; %bb.758:
	v_mov_b32_e32 v0, 1
	ds_write_b32 v0, v0
	s_trap 2
.LBB2_759:
	s_or_b64 exec, exec, s[6:7]
	;;#ASMSTART
	s_wakeup
	;;#ASMEND
.LBB2_760:
	s_or_b64 exec, exec, s[4:5]
.LBB2_761:
	s_andn2_saveexec_b64 s[2:3], s[2:3]
	s_cbranch_execz .LBB2_763
; %bb.762:
	s_waitcnt lgkmcnt(0)
	s_barrier
.LBB2_763:
	s_or_b64 exec, exec, s[0:1]
.LBB2_764:
	s_andn2_saveexec_b64 s[22:23], s[20:21]
	s_cbranch_execz .LBB2_766
; %bb.765:
	s_getpc_b64 s[0:1]
	s_add_u32 s0, s0, __PRETTY_FUNCTION__._ZN10PrimitivesI12hip_bfloat168FuncProdIS0_E12FanSymmetricILi1EELi0E11ProtoSimpleILi1ELi1ELi0ELi1ELi0ELi0EELi0ELb0ELi0ELi0ELi0EEC2EiiPKiS9_PKvPvmhhhP15ncclDevWorkCollP14ncclDevWorkP2pii@rel32@lo+4
	s_addc_u32 s1, s1, __PRETTY_FUNCTION__._ZN10PrimitivesI12hip_bfloat168FuncProdIS0_E12FanSymmetricILi1EELi0E11ProtoSimpleILi1ELi1ELi0ELi1ELi0ELi0EELi0ELb0ELi0ELi0ELi0EEC2EiiPKiS9_PKvPvmhhhP15ncclDevWorkCollP14ncclDevWorkP2pii@rel32@hi+12
	v_mov_b32_e32 v0, s0
	v_mov_b32_e32 v1, s1
	s_getpc_b64 s[2:3]
	s_add_u32 s2, s2, __assert_fail@rel32@lo+4
	s_addc_u32 s3, s3, __assert_fail@rel32@hi+12
	s_swappc_b64 s[30:31], s[2:3]
	; divergent unreachable
.LBB2_766:
	s_or_b64 exec, exec, s[22:23]
	v_readlane_b32 s30, v63, 32
	v_readlane_b32 s31, v63, 33
	;; [unrolled: 1-line block ×34, first 2 shown]
	v_accvgpr_read_b32 v62, a28             ;  Reload Reuse
	v_accvgpr_read_b32 v61, a27             ;  Reload Reuse
	;; [unrolled: 1-line block ×3, first 2 shown]
	s_waitcnt lgkmcnt(0)
	v_accvgpr_read_b32 v59, a25             ;  Reload Reuse
	v_accvgpr_read_b32 v58, a24             ;  Reload Reuse
	;; [unrolled: 1-line block ×12, first 2 shown]
	v_readlane_b32 s0, v63, 34
	s_or_saveexec_b64 s[2:3], -1
	scratch_load_dword v63, off, s33        ; 4-byte Folded Reload
	s_mov_b64 exec, s[2:3]
	s_add_i32 s32, s32, -16
	s_mov_b32 s33, s0
	s_waitcnt vmcnt(0)
	s_setpc_b64 s[30:31]
.Lfunc_end2:
	.size	_ZN12_GLOBAL__N_17runRingI12hip_bfloat168FuncProdIS1_E11ProtoSimpleILi1ELi1ELi0ELi1ELi0ELi0EELi0ELi1ELi0EEEviiP15ncclDevWorkColl, .Lfunc_end2-_ZN12_GLOBAL__N_17runRingI12hip_bfloat168FuncProdIS1_E11ProtoSimpleILi1ELi1ELi0ELi1ELi0ELi0EELi0ELi1ELi0EEEviiP15ncclDevWorkColl
                                        ; -- End function
	.section	.AMDGPU.csdata,"",@progbits
; Function info:
; codeLenInByte = 22072
; NumSgprs: 72
; NumVgprs: 64
; NumAgprs: 29
; TotalNumVgprs: 93
; ScratchSize: 80
; MemoryBound: 1
	.text
	.p2align	2                               ; -- Begin function _Z46ncclDevFunc_Reduce_RING_SIMPLE_Prod_bf16_0_0_1v
	.type	_Z46ncclDevFunc_Reduce_RING_SIMPLE_Prod_bf16_0_0_1v,@function
_Z46ncclDevFunc_Reduce_RING_SIMPLE_Prod_bf16_0_0_1v: ; @_Z46ncclDevFunc_Reduce_RING_SIMPLE_Prod_bf16_0_0_1v
; %bb.0:
	s_waitcnt vmcnt(0) expcnt(0) lgkmcnt(0)
	s_mov_b32 s0, s33
	s_mov_b32 s33, s32
	s_or_saveexec_b64 s[2:3], -1
	scratch_store_dword off, v43, s33 offset:4 ; 4-byte Folded Spill
	s_mov_b64 exec, s[2:3]
	v_writelane_b32 v43, s0, 42
	v_accvgpr_write_b32 a29, v40            ;  Reload Reuse
	s_add_i32 s32, s32, 16
	v_accvgpr_write_b32 a30, v41            ;  Reload Reuse
	v_accvgpr_write_b32 a31, v42            ;  Reload Reuse
	scratch_store_dword off, v63, s33       ; 4-byte Folded Spill
	v_writelane_b32 v43, s34, 0
	v_writelane_b32 v43, s35, 1
	v_writelane_b32 v43, s36, 2
	v_writelane_b32 v43, s37, 3
	v_writelane_b32 v43, s38, 4
	v_writelane_b32 v43, s39, 5
	v_writelane_b32 v43, s40, 6
	v_writelane_b32 v43, s41, 7
	v_writelane_b32 v43, s42, 8
	v_writelane_b32 v43, s43, 9
	v_writelane_b32 v43, s44, 10
	v_writelane_b32 v43, s45, 11
	v_writelane_b32 v43, s46, 12
	v_writelane_b32 v43, s47, 13
	v_writelane_b32 v43, s48, 14
	v_writelane_b32 v43, s49, 15
	v_writelane_b32 v43, s50, 16
	v_writelane_b32 v43, s51, 17
	v_writelane_b32 v43, s52, 18
	v_writelane_b32 v43, s53, 19
	v_writelane_b32 v43, s54, 20
	v_writelane_b32 v43, s55, 21
	v_writelane_b32 v43, s56, 22
	v_writelane_b32 v43, s57, 23
	v_writelane_b32 v43, s58, 24
	v_writelane_b32 v43, s59, 25
	v_writelane_b32 v43, s60, 26
	v_writelane_b32 v43, s61, 27
	v_writelane_b32 v43, s62, 28
	v_writelane_b32 v43, s63, 29
	v_writelane_b32 v43, s64, 30
	v_writelane_b32 v43, s65, 31
	v_writelane_b32 v43, s66, 32
	v_writelane_b32 v43, s67, 33
	v_writelane_b32 v43, s68, 34
	v_writelane_b32 v43, s69, 35
	v_writelane_b32 v43, s70, 36
	v_writelane_b32 v43, s71, 37
	v_writelane_b32 v43, s72, 38
	v_writelane_b32 v43, s73, 39
	v_writelane_b32 v43, s30, 40
	s_nop 1
	v_writelane_b32 v43, s31, 41
	s_trap 2
	ds_read_b32 v0, v0
	v_mov_b32_e32 v40, v31
	s_mov_b32 s68, s12
	s_mov_b64 s[66:67], s[8:9]
	s_waitcnt lgkmcnt(0)
	v_cmp_gt_i32_e32 vcc, 1, v0
	s_cbranch_vccnz .LBB3_8
; %bb.1:
	s_mov_b32 s69, 0
	v_and_b32_e32 v41, 0x3ff, v40
	s_mov_b64 s[70:71], src_shared_base
	v_mov_b32_e32 v42, 6
	s_branch .LBB3_3
.LBB3_2:                                ;   in Loop: Header=BB3_3 Depth=1
	s_or_b64 exec, exec, s[72:73]
	s_trap 2
	ds_read_b32 v0, v0
	s_add_i32 s69, s69, 1
	s_waitcnt lgkmcnt(0)
	v_cmp_lt_i32_e32 vcc, s69, v0
	s_cbranch_vccz .LBB3_8
.LBB3_3:                                ; =>This Inner Loop Header: Depth=1
	s_trap 2
	ds_read_b32 v0, v0
	s_cmp_eq_u32 s69, 0
	s_cbranch_scc1 .LBB3_6
; %bb.4:                                ;   in Loop: Header=BB3_3 Depth=1
	s_trap 2
	s_waitcnt lgkmcnt(0)
	ds_read_b32 v1, v0
	s_waitcnt lgkmcnt(0)
	v_xor_b32_e32 v1, v1, v0
	v_and_b32_e32 v1, 0xff0000, v1
	v_cmp_eq_u32_e32 vcc, 0, v1
	s_cbranch_vccnz .LBB3_6
; %bb.5:                                ;   in Loop: Header=BB3_3 Depth=1
	s_barrier
	ds_read_b32 v0, v0
.LBB3_6:                                ;   in Loop: Header=BB3_3 Depth=1
	s_waitcnt lgkmcnt(0)
	v_lshlrev_b32_sdwa v1, v42, v0 dst_sel:DWORD dst_unused:UNUSED_PAD src0_sel:DWORD src1_sel:BYTE_2
	v_cmp_lt_u32_e32 vcc, v41, v1
	s_and_saveexec_b64 s[72:73], vcc
	s_cbranch_execz .LBB3_2
; %bb.7:                                ;   in Loop: Header=BB3_3 Depth=1
	s_mov_b64 s[8:9], s[66:67]
	s_mov_b32 s12, s68
	v_mov_b32_e32 v31, v40
	v_mov_b32_e32 v0, v41
	;; [unrolled: 1-line block ×3, first 2 shown]
	s_getpc_b64 s[0:1]
	s_add_u32 s0, s0, _ZN12_GLOBAL__N_17runRingI12hip_bfloat168FuncProdIS1_E11ProtoSimpleILi1ELi1ELi0ELi1ELi0ELi0EELi0ELi1ELi0EEEviiP15ncclDevWorkColl@rel32@lo+4
	s_addc_u32 s1, s1, _ZN12_GLOBAL__N_17runRingI12hip_bfloat168FuncProdIS1_E11ProtoSimpleILi1ELi1ELi0ELi1ELi0ELi0EELi0ELi1ELi0EEEviiP15ncclDevWorkColl@rel32@hi+12
	s_swappc_b64 s[30:31], s[0:1]
	s_branch .LBB3_2
.LBB3_8:
	scratch_load_dword v63, off, s33        ; 4-byte Folded Reload
	v_readlane_b32 s30, v43, 40
	v_readlane_b32 s31, v43, 41
	;; [unrolled: 1-line block ×42, first 2 shown]
	v_accvgpr_read_b32 v42, a31             ;  Reload Reuse
	v_accvgpr_read_b32 v41, a30             ;  Reload Reuse
	v_accvgpr_read_b32 v40, a29             ;  Reload Reuse
	v_readlane_b32 s0, v43, 42
	s_or_saveexec_b64 s[2:3], -1
	scratch_load_dword v43, off, s33 offset:4 ; 4-byte Folded Reload
	s_mov_b64 exec, s[2:3]
	s_add_i32 s32, s32, -16
	s_mov_b32 s33, s0
	s_waitcnt vmcnt(0)
	s_setpc_b64 s[30:31]
.Lfunc_end3:
	.size	_Z46ncclDevFunc_Reduce_RING_SIMPLE_Prod_bf16_0_0_1v, .Lfunc_end3-_Z46ncclDevFunc_Reduce_RING_SIMPLE_Prod_bf16_0_0_1v
                                        ; -- End function
	.section	.AMDGPU.csdata,"",@progbits
; Function info:
; codeLenInByte = 1056
; NumSgprs: 80
; NumVgprs: 64
; NumAgprs: 32
; TotalNumVgprs: 96
; ScratchSize: 96
; MemoryBound: 0
	.text
	.p2align	2                               ; -- Begin function _ZN12_GLOBAL__N_17runRingI12hip_bfloat168FuncProdIS1_E11ProtoSimpleILi1ELi1ELi0ELi1ELi0ELi0EELi0ELi1ELi1EEEviiP15ncclDevWorkColl
	.type	_ZN12_GLOBAL__N_17runRingI12hip_bfloat168FuncProdIS1_E11ProtoSimpleILi1ELi1ELi0ELi1ELi0ELi0EELi0ELi1ELi1EEEviiP15ncclDevWorkColl,@function
_ZN12_GLOBAL__N_17runRingI12hip_bfloat168FuncProdIS1_E11ProtoSimpleILi1ELi1ELi0ELi1ELi0ELi0EELi0ELi1ELi1EEEviiP15ncclDevWorkColl: ; @_ZN12_GLOBAL__N_17runRingI12hip_bfloat168FuncProdIS1_E11ProtoSimpleILi1ELi1ELi0ELi1ELi0ELi0EELi0ELi1ELi1EEEviiP15ncclDevWorkColl
; %bb.0:
	s_waitcnt vmcnt(0) expcnt(0) lgkmcnt(0)
	s_mov_b32 s0, s33
	s_mov_b32 s33, s32
	s_or_saveexec_b64 s[2:3], -1
	scratch_store_dword off, v63, s33 offset:128 ; 4-byte Folded Spill
	s_mov_b64 exec, s[2:3]
	v_writelane_b32 v63, s0, 43
	s_addk_i32 s32, 0x90
	scratch_store_dword off, v40, s33 offset:56 ; 4-byte Folded Spill
	scratch_store_dword off, v41, s33 offset:52 ; 4-byte Folded Spill
	;; [unrolled: 1-line block ×14, first 2 shown]
	scratch_store_dword off, v62, s33       ; 4-byte Folded Spill
	v_writelane_b32 v63, s34, 0
	v_writelane_b32 v63, s35, 1
	;; [unrolled: 1-line block ×42, first 2 shown]
	s_nop 1
	v_writelane_b32 v63, s31, 42
	s_trap 2
	ds_read_b64 v[14:15], v0
	ds_read_b32 v6, v0
	v_mov_b32_e32 v23, v1
	v_mov_b32_e32 v27, v0
	flat_load_ushort v17, v[2:3] offset:8
	flat_load_dwordx2 v[8:9], v[2:3]
	s_waitcnt lgkmcnt(0)
	v_ashrrev_i32_e32 v1, 31, v15
	v_mov_b32_e32 v0, v15
	v_lshlrev_b64 v[0:1], 2, v[0:1]
	v_lshl_add_u64 v[0:1], v[14:15], 0, v[0:1]
	v_add_co_u32_e32 v0, vcc, -4, v0
                                        ; implicit-def: $vgpr18_vgpr19
                                        ; implicit-def: $vgpr4_vgpr5
                                        ; implicit-def: $agpr4_agpr5
	s_waitcnt vmcnt(0)
	v_mov_b32_e32 v16, v9
	v_addc_co_u32_e32 v1, vcc, -1, v1, vcc
	flat_load_dword v1, v[0:1]
	v_cmp_ne_u32_sdwa s[0:1], v8, v6 src0_sel:BYTE_0 src1_sel:DWORD
	s_and_saveexec_b64 s[2:3], s[0:1]
	s_xor_b64 s[0:1], exec, s[2:3]
	s_cbranch_execz .LBB4_6
; %bb.1:
	v_not_b32_sdwa v0, v8 dst_sel:DWORD dst_unused:UNUSED_PAD src0_sel:BYTE_0
	v_cmp_ne_u32_sdwa s[2:3], v8, v6 src0_sel:BYTE_1 src1_sel:DWORD
                                        ; implicit-def: $vgpr18_vgpr19
                                        ; implicit-def: $vgpr4_vgpr5
                                        ; implicit-def: $agpr4_agpr5
	s_and_saveexec_b64 s[4:5], s[2:3]
	s_xor_b64 s[2:3], exec, s[4:5]
	s_cbranch_execz .LBB4_3
; %bb.2:
	flat_load_dwordx4 v[8:11], v[2:3] offset:72
	flat_load_dwordx2 v[4:5], v[2:3] offset:96
	v_add_u32_e32 v0, v6, v0
	v_ashrrev_i32_e32 v6, 31, v0
	s_waitcnt vmcnt(0) lgkmcnt(0)
	v_mul_lo_u32 v6, v10, v6
	v_mad_u64_u32 v[8:9], s[4:5], v10, v0, v[8:9]
	v_mul_lo_u32 v0, v11, v0
	v_add3_u32 v9, v0, v9, v6
	v_accvgpr_write_b32 a4, v8
	v_lshrrev_b64 v[18:19], 13, v[4:5]
	v_accvgpr_write_b32 a5, v9
	v_mov_b64_e32 v[4:5], v[10:11]
                                        ; implicit-def: $vgpr8
                                        ; implicit-def: $vgpr0
.LBB4_3:
	s_andn2_saveexec_b64 s[2:3], s[2:3]
	s_cbranch_execz .LBB4_5
; %bb.4:
	flat_load_dwordx4 v[10:13], v[2:3] offset:72
	flat_load_dwordx4 v[4:7], v[2:3] offset:88
	v_add_u32_sdwa v0, v8, v0 dst_sel:DWORD dst_unused:UNUSED_PAD src0_sel:BYTE_1 src1_sel:DWORD
	s_waitcnt vmcnt(0) lgkmcnt(0)
	v_ashrrev_i32_e32 v6, 31, v0
	v_mul_lo_u32 v6, v12, v6
	v_mad_u64_u32 v[8:9], s[4:5], v12, v0, v[10:11]
	v_mul_lo_u32 v0, v13, v0
	v_add3_u32 v9, v0, v9, v6
	v_accvgpr_write_b32 a4, v8
	v_accvgpr_write_b32 a5, v9
	v_lshrrev_b32_e32 v18, 2, v7
.LBB4_5:
	s_or_b64 exec, exec, s[2:3]
.LBB4_6:
	s_andn2_saveexec_b64 s[0:1], s[0:1]
	s_cbranch_execz .LBB4_8
; %bb.7:
	flat_load_dwordx2 v[6:7], v[2:3] offset:96
	flat_load_dwordx2 v[4:5], v[2:3] offset:72
	s_waitcnt vmcnt(0) lgkmcnt(0)
	v_lshlrev_b64 v[18:19], 8, v[6:7]
	v_mov_b64_e32 v[6:7], 0
	v_accvgpr_write_b32 a4, v6
	v_accvgpr_write_b32 a5, v7
.LBB4_8:
	s_or_b64 exec, exec, s[0:1]
	s_trap 2
	ds_read_b64 v[6:7], v0
	s_waitcnt lgkmcnt(0)
	v_cmp_ne_u32_e32 vcc, -1, v6
	s_nop 1
	v_cndmask_b32_e64 v0, 0, 1, vcc
	v_cmp_ne_u32_e32 vcc, -1, v7
	s_nop 1
	v_addc_co_u32_e64 v6, s[0:1], 0, v0, vcc
	v_lshlrev_b32_e32 v7, 1, v6
	v_cmp_le_i32_e64 s[0:1], v7, v23
	s_and_saveexec_b64 s[2:3], s[0:1]
	s_xor_b64 s[24:25], exec, s[2:3]
	s_cbranch_execz .LBB4_1213
; %bb.9:
	flat_load_dwordx4 v[10:13], v[2:3] offset:16
	flat_load_dwordx2 v[20:21], v[2:3] offset:104
	s_trap 2
	s_load_dword s0, s[8:9], 0x0
	v_mov_b32_e32 v2, 0
	v_mov_b32_e32 v62, 4
	s_waitcnt lgkmcnt(0)
	s_cmp_lt_u32 s12, s0
	s_cselect_b32 s0, 12, 18
	s_add_u32 s0, s8, s0
	s_addc_u32 s1, s9, 0
	global_load_ushort v22, v2, s[0:1]
	ds_read_b32 v2, v0
	v_cmp_ge_i32_e64 s[0:1], v27, v0
	s_waitcnt lgkmcnt(0)
	v_readfirstlane_b32 s6, v2
	s_and_saveexec_b64 s[2:3], s[0:1]
	s_cbranch_execz .LBB4_19
; %bb.10:
	v_cmp_le_u32_e64 s[0:1], v6, v27
                                        ; implicit-def: $vgpr62
	s_and_saveexec_b64 s[4:5], s[0:1]
	s_xor_b64 s[0:1], exec, s[4:5]
	s_cbranch_execz .LBB4_16
; %bb.11:
	v_cndmask_b32_e64 v2, 0, 1, vcc
	v_sub_u32_e32 v2, v23, v2
	v_cmp_ge_u32_e32 vcc, v27, v2
                                        ; implicit-def: $sgpr7
	s_and_saveexec_b64 s[4:5], vcc
	s_xor_b64 s[4:5], exec, s[4:5]
; %bb.12:
	s_mov_b32 s7, 16
                                        ; implicit-def: $vgpr6
; %bb.13:
	s_or_saveexec_b64 s[4:5], s[4:5]
	v_mov_b32_e32 v62, s7
	s_xor_b64 exec, exec, s[4:5]
; %bb.14:
	v_sub_u32_e32 v2, v23, v6
	v_cmp_ge_i32_e32 vcc, v27, v2
	s_nop 1
	v_cndmask_b32_e64 v2, 0, 1, vcc
	v_lshlrev_b32_e32 v62, 5, v2
; %bb.15:
	s_or_b64 exec, exec, s[4:5]
.LBB4_16:
	s_andn2_saveexec_b64 s[0:1], s[0:1]
; %bb.17:
	v_mov_b32_e32 v62, 8
; %bb.18:
	s_or_b64 exec, exec, s[0:1]
.LBB4_19:
	s_or_b64 exec, exec, s[2:3]
	v_and_b32_e32 v2, 36, v62
	v_cmp_ne_u32_e32 vcc, 0, v2
	v_mov_b32_e32 v2, -1
	s_and_saveexec_b64 s[0:1], vcc
	s_cbranch_execz .LBB4_21
; %bb.20:
	s_trap 2
	ds_read_b32 v2, v0
.LBB4_21:
	s_or_b64 exec, exec, s[0:1]
	v_and_b32_e32 v3, 24, v62
	v_cmp_ne_u32_e64 s[0:1], 0, v3
	s_and_saveexec_b64 s[2:3], s[0:1]
	s_cbranch_execz .LBB4_23
; %bb.22:
	s_trap 2
	s_waitcnt lgkmcnt(0)
	ds_read_b32 v2, v0
.LBB4_23:
	s_or_b64 exec, exec, s[2:3]
	v_lshrrev_b64 v[6:7], 31, v[16:17]
	v_mov_b64_e32 v[24:25], 0
	v_and_b32_e32 v15, 3, v6
	s_waitcnt lgkmcnt(0)
	v_ashrrev_i32_e32 v3, 31, v2
	v_mov_b64_e32 v[6:7], v[24:25]
                                        ; implicit-def: $agpr6_agpr7
                                        ; implicit-def: $agpr10
                                        ; implicit-def: $vgpr38_vgpr39
                                        ; implicit-def: $agpr12_agpr13
                                        ; implicit-def: $vgpr34_vgpr35
	s_and_saveexec_b64 s[0:1], vcc
	s_cbranch_execz .LBB4_33
; %bb.24:
	s_trap 2
	ds_read_b64 v[6:7], v0
	v_and_b32_e32 v8, 0xffff, v15
	s_movk_i32 s2, 0xa8
                                        ; implicit-def: $agpr6_agpr7
	s_waitcnt lgkmcnt(0)
	v_lshl_add_u64 v[6:7], v[2:3], 3, v[6:7]
	flat_load_dwordx2 v[6:7], v[6:7]
	s_waitcnt vmcnt(0) lgkmcnt(0)
	v_mad_u64_u32 v[6:7], s[2:3], v8, s2, v[6:7]
	flat_load_dword v8, v[6:7] offset:640
	s_mov_b64 s[2:3], 0x1f8
	v_lshl_add_u64 v[24:25], v[6:7], 0, s[2:3]
	s_waitcnt vmcnt(0) lgkmcnt(0)
	v_cmp_eq_u32_e32 vcc, 1, v8
	s_and_saveexec_b64 s[2:3], vcc
	s_cbranch_execz .LBB4_26
; %bb.25:
	flat_load_dwordx2 v[8:9], v[24:25] offset:144
	v_or_b32_e32 v62, 0x2000, v62
	s_waitcnt vmcnt(0) lgkmcnt(0)
	flat_load_dwordx2 v[6:7], v[8:9]
	s_trap 2
	v_accvgpr_write_b32 a6, v8
	v_accvgpr_write_b32 a7, v9
	s_waitcnt vmcnt(0) lgkmcnt(0)
	ds_write_b64 v0, v[6:7]
	flat_load_dwordx2 v[6:7], v[8:9] offset:8
	s_waitcnt vmcnt(0) lgkmcnt(0)
	ds_write_b64 v0, v[6:7]
	flat_load_dwordx2 v[6:7], v[8:9] offset:16
	s_waitcnt vmcnt(0) lgkmcnt(0)
	ds_write_b64 v0, v[6:7]
.LBB4_26:
	s_or_b64 exec, exec, s[2:3]
	flat_load_dwordx2 v[8:9], v[24:25] offset:104
	v_and_b32_e32 v6, 32, v62
	v_cmp_ne_u32_e32 vcc, 0, v6
                                        ; implicit-def: $vgpr34_vgpr35
	s_and_saveexec_b64 s[2:3], vcc
	s_cbranch_execz .LBB4_28
; %bb.27:
	flat_load_dwordx2 v[34:35], v[24:25] offset:56
	s_waitcnt vmcnt(0) lgkmcnt(0)
	flat_store_dwordx2 v[34:35], v[8:9] sc0 sc1
.LBB4_28:
	s_or_b64 exec, exec, s[2:3]
	v_and_b32_e32 v6, 4, v62
	v_cmp_ne_u32_e32 vcc, 0, v6
	v_mov_b64_e32 v[6:7], 0
                                        ; implicit-def: $agpr10
                                        ; implicit-def: $vgpr38_vgpr39
                                        ; implicit-def: $agpr12_agpr13
	s_and_saveexec_b64 s[2:3], vcc
	s_cbranch_execz .LBB4_32
; %bb.29:
	v_and_b32_e32 v6, 0x800, v62
	v_cmp_eq_u32_e32 vcc, 0, v6
	s_and_saveexec_b64 s[4:5], vcc
	s_cbranch_execz .LBB4_31
; %bb.30:
	s_trap 2
	ds_write_b64 v0, v[24:25]
.LBB4_31:
	s_or_b64 exec, exec, s[4:5]
	flat_load_dwordx2 v[34:35], v[24:25] offset:48
	v_or_b32_e32 v19, 0x100, v62
	s_waitcnt vmcnt(0) lgkmcnt(0)
	flat_load_dwordx2 v[38:39], v[34:35] sc0 sc1
	flat_load_dword v17, v[24:25] offset:72
	flat_load_dwordx2 v[6:7], v[24:25] offset:96
	flat_load_dwordx2 a[12:13], v[24:25] offset:16
	s_waitcnt vmcnt(0) lgkmcnt(0)
	v_ashrrev_i32_e32 v26, 1, v17
	v_cmp_eq_u64_e32 vcc, 0, v[6:7]
	v_accvgpr_write_b32 a10, v26
	s_nop 0
	v_cndmask_b32_e32 v62, v19, v62, vcc
.LBB4_32:
	s_or_b64 exec, exec, s[2:3]
.LBB4_33:
	s_or_b64 exec, exec, s[0:1]
	v_and_b32_e32 v17, 24, v62
	v_cmp_ne_u32_e32 vcc, 0, v17
                                        ; implicit-def: $agpr14_agpr15
	s_and_saveexec_b64 s[0:1], vcc
	s_cbranch_execz .LBB4_41
; %bb.34:
	s_trap 2
	ds_read_b64 v[6:7], v0
	s_movk_i32 s2, 0xa8
                                        ; implicit-def: $agpr14_agpr15
	s_waitcnt lgkmcnt(0)
	v_lshl_add_u64 v[2:3], v[2:3], 3, v[6:7]
	flat_load_dwordx2 v[2:3], v[2:3]
	v_and_b32_e32 v6, 0xffff, v15
	s_waitcnt vmcnt(0) lgkmcnt(0)
	v_mad_u64_u32 v[24:25], s[2:3], v6, s2, v[2:3]
	flat_load_dwordx4 v[6:9], v[24:25] offset:96
	v_or_b32_e32 v2, 0x100, v62
	s_waitcnt vmcnt(0) lgkmcnt(0)
	v_cmp_eq_u64_e32 vcc, 0, v[6:7]
	s_nop 1
	v_cndmask_b32_e32 v62, v2, v62, vcc
	v_and_b32_e32 v2, 16, v62
	v_cmp_ne_u32_e32 vcc, 0, v2
	s_and_saveexec_b64 s[2:3], vcc
	s_cbranch_execz .LBB4_36
; %bb.35:
	flat_load_dwordx2 a[14:15], v[24:25] offset:120
	flat_load_dwordx2 v[34:35], v[24:25] offset:48
	flat_load_dwordx2 a[12:13], v[24:25] offset:16
.LBB4_36:
	s_or_b64 exec, exec, s[2:3]
	v_and_b32_e32 v2, 8, v62
	v_cmp_ne_u32_e32 vcc, 0, v2
	s_and_saveexec_b64 s[2:3], vcc
	s_cbranch_execz .LBB4_40
; %bb.37:
	v_and_b32_e32 v2, 0x800, v62
	v_cmp_eq_u32_e32 vcc, 0, v2
	s_and_saveexec_b64 s[4:5], vcc
	s_cbranch_execz .LBB4_39
; %bb.38:
	s_trap 2
	ds_write_b64 v0, v[24:25]
.LBB4_39:
	s_or_b64 exec, exec, s[4:5]
	s_waitcnt vmcnt(0) lgkmcnt(0)
	flat_load_dwordx2 v[34:35], v[24:25] offset:56
	s_waitcnt vmcnt(0) lgkmcnt(0)
	flat_load_dwordx2 v[38:39], v[34:35] sc0 sc1
	flat_load_dword v2, v[24:25] offset:72
	flat_load_dwordx2 a[12:13], v[24:25] offset:16
	s_waitcnt vmcnt(0) lgkmcnt(0)
	v_ashrrev_i32_e32 v2, 1, v2
	v_accvgpr_write_b32 a10, v2
.LBB4_40:
	s_or_b64 exec, exec, s[2:3]
.LBB4_41:
	s_or_b64 exec, exec, s[0:1]
	v_cmp_eq_u32_e64 s[0:1], 0, v27
	s_and_saveexec_b64 s[2:3], s[0:1]
	s_cbranch_execz .LBB4_43
; %bb.42:
	s_waitcnt vmcnt(0)
	v_mov_b32_e32 v2, v12
	v_mov_b32_e32 v3, v13
	ds_write2_b64 v0, v[2:3], v[10:11] offset1:1
	v_mov_b32_e32 v2, 0
	v_mov_b32_e32 v3, v2
	s_trap 2
	ds_write_b64 v0, v[2:3]
	ds_write_b64 v0, v[20:21]
.LBB4_43:
	s_or_b64 exec, exec, s[2:3]
	s_ashr_i32 s2, s6, 31
	s_lshr_b32 s2, s2, 29
	s_add_i32 s6, s6, s2
	v_bfe_u32 v2, v16, 1, 30
	v_and_b32_e32 v50, 0x1fffff00, v18
	v_mov_b32_e32 v51, 0
	s_ashr_i32 s68, s6, 4
	s_waitcnt vmcnt(0)
	v_cmp_ne_u32_e32 vcc, v1, v2
                                        ; implicit-def: $vgpr32_vgpr33
	s_and_saveexec_b64 s[2:3], vcc
	s_xor_b64 s[26:27], exec, s[2:3]
	s_cbranch_execz .LBB4_975
; %bb.44:
	v_cmp_ne_u32_e32 vcc, v14, v2
	v_cmp_ne_u64_e64 s[2:3], 0, v[4:5]
                                        ; implicit-def: $vgpr32_vgpr33
	s_and_saveexec_b64 s[4:5], vcc
	s_xor_b64 s[28:29], exec, s[4:5]
	s_cbranch_execz .LBB4_513
; %bb.45:
	v_mov_b64_e32 v[32:33], 0
	s_and_saveexec_b64 s[30:31], s[2:3]
	s_cbranch_execz .LBB4_512
; %bb.46:
	v_accvgpr_read_b32 v2, a10
	v_ashrrev_i32_e32 v1, 31, v2
	v_accvgpr_write_b32 a11, v1
	v_and_b32_e32 v1, 63, v31
	v_cmp_eq_u32_e64 s[10:11], 0, v1
	v_ashrrev_i32_e32 v1, 31, v27
	v_lshrrev_b32_e32 v1, 26, v1
	v_add_u32_e32 v1, v27, v1
	v_accvgpr_write_b32 a2, v24
	v_and_b32_e32 v2, 0xffffffc0, v1
	v_accvgpr_write_b32 a3, v25
	s_lshr_b32 s4, s68, 27
	v_lshrrev_b32_e32 v24, 6, v23
	v_sub_u32_e32 v2, v27, v2
	s_add_i32 s4, s68, s4
	v_cmp_le_i32_e64 s[12:13], v2, v0
	v_accvgpr_write_b32 a16, v2
	v_cmp_lt_i32_e64 s[14:15], v2, v0
	v_lshlrev_b32_e32 v2, 4, v27
	v_lshlrev_b32_e32 v30, 10, v24
	s_ashr_i32 s69, s4, 5
	v_ashrrev_i32_e32 v0, 6, v1
	v_ashrrev_i32_e32 v3, 31, v2
	v_add_u32_e32 v42, 0xfffffc00, v30
	v_sub_u32_e32 v0, 0, v0
	s_add_i32 s16, s33, 0x60
	v_accvgpr_write_b32 a19, v3
	v_ashrrev_i32_e32 v43, 31, v42
	s_mov_b64 s[36:37], 0x400
	v_accvgpr_write_b32 a17, v0
	v_mov_b32_e32 v0, s16
	v_accvgpr_write_b32 a18, v2
	v_lshl_add_u64 v[2:3], v[42:43], 0, s[36:37]
	v_add_u32_e32 v37, 16, v0
	s_add_i32 s16, s33, 64
	v_accvgpr_write_b32 a21, v3
	v_add_u32_e32 v40, 16, v0
	v_mov_b32_e32 v0, 0xfffffe00
	v_mov_b32_e32 v1, s16
	v_accvgpr_write_b32 a20, v2
	v_lshl_add_u32 v0, v24, 9, v0
	v_lshlrev_b32_e32 v2, 7, v24
	v_add_u32_e32 v36, 16, v1
	v_add_u32_e32 v41, 16, v1
	v_ashrrev_i32_e32 v1, 31, v0
	v_add_u32_e32 v10, 0xffffff80, v2
	s_mov_b64 s[38:39], 0x200
	v_accvgpr_write_b32 a23, v1
	v_ashrrev_i32_e32 v11, 31, v10
	s_mov_b64 s[40:41], 0x80
	v_accvgpr_write_b32 a22, v0
	v_lshl_add_u64 v[56:57], v[0:1], 0, s[38:39]
	v_lshl_add_u64 v[12:13], v[10:11], 0, s[40:41]
	s_waitcnt lgkmcnt(0)
	v_accvgpr_read_b32 v0, a14
	v_cmp_eq_u32_e32 vcc, 64, v23
	v_mov_b32_e32 v55, 0
	v_accvgpr_read_b32 v1, a15
	v_mov_b64_e32 v[48:49], 0
	v_accvgpr_write_b32 a27, v11
	v_accvgpr_write_b32 a29, v13
	v_cmp_ge_i32_e64 s[4:5], v27, v23
	v_cmp_ne_u32_e64 s[6:7], 64, v23
	v_accvgpr_write_b32 a0, v22
	v_cmp_ne_u32_sdwa s[34:35], v22, v23 src0_sel:WORD_0 src1_sel:DWORD
	v_accvgpr_write_b32 a8, v31
	v_accvgpr_write_b32 a1, v23
	v_mov_b32_e32 v25, v55
	v_accvgpr_write_b32 a9, v27
	s_mov_b64 s[42:43], 0
	v_cmp_eq_u64_e64 s[16:17], 0, v[0:1]
	s_movk_i32 s70, 0x270e
	s_movk_i32 s71, 0x108
	s_xor_b64 s[44:45], vcc, -1
	s_mov_b32 s72, 0x7f800000
	s_movk_i32 s73, 0x7fff
	s_mov_b32 s74, 0xffff0000
	v_mov_b64_e32 v[32:33], v[48:49]
	v_accvgpr_write_b32 a24, v2
	v_accvgpr_write_b32 a26, v10
	;; [unrolled: 1-line block ×3, first 2 shown]
	s_trap 2
	s_branch .LBB4_49
.LBB4_47:                               ;   in Loop: Header=BB4_49 Depth=1
	s_or_b64 exec, exec, s[18:19]
.LBB4_48:                               ;   in Loop: Header=BB4_49 Depth=1
	s_or_b64 exec, exec, s[20:21]
	v_lshl_add_u64 v[48:49], v[48:49], 0, v[50:51]
	v_cmp_ge_u64_e32 vcc, v[48:49], v[4:5]
	s_or_b64 s[42:43], vcc, s[42:43]
	s_andn2_b64 exec, exec, s[42:43]
	s_cbranch_execz .LBB4_511
.LBB4_49:                               ; =>This Loop Header: Depth=1
                                        ;     Child Loop BB4_58 Depth 2
                                        ;     Child Loop BB4_84 Depth 2
	;; [unrolled: 1-line block ×4, first 2 shown]
                                        ;       Child Loop BB4_125 Depth 3
                                        ;       Child Loop BB4_162 Depth 3
                                        ;     Child Loop BB4_238 Depth 2
                                        ;       Child Loop BB4_239 Depth 3
                                        ;       Child Loop BB4_276 Depth 3
                                        ;     Child Loop BB4_353 Depth 2
                                        ;     Child Loop BB4_412 Depth 2
                                        ;       Child Loop BB4_413 Depth 3
                                        ;       Child Loop BB4_422 Depth 3
                                        ;     Child Loop BB4_443 Depth 2
                                        ;     Child Loop BB4_468 Depth 2
	;; [unrolled: 1-line block ×3, first 2 shown]
	v_sub_co_u32_e32 v0, vcc, v4, v48
	s_nop 1
	v_subb_co_u32_e32 v1, vcc, v5, v49, vcc
	v_cmp_lt_u64_e32 vcc, v[50:51], v[0:1]
	s_nop 1
	v_cndmask_b32_e64 v23, v1, 0, vcc
	v_cndmask_b32_e32 v22, v0, v50, vcc
	v_add_u32_e32 v0, 15, v22
	v_cmp_eq_u64_e32 vcc, 0, v[22:23]
	v_and_b32_e32 v0, 0x3ffffff0, v0
	s_or_b64 s[46:47], s[4:5], vcc
	v_max_i32_e32 v31, s69, v0
	s_xor_b64 s[18:19], s[46:47], -1
	v_mov_b32_e32 v0, 0
	s_and_saveexec_b64 s[48:49], s[18:19]
	s_cbranch_execz .LBB4_461
; %bb.50:                               ;   in Loop: Header=BB4_49 Depth=1
	s_and_saveexec_b64 s[18:19], s[0:1]
	s_cbranch_execz .LBB4_52
; %bb.51:                               ;   in Loop: Header=BB4_49 Depth=1
	s_trap 2
	ds_read_b64 v[0:1], v0
	v_accvgpr_read_b32 v2, a4
	v_accvgpr_read_b32 v3, a5
	v_mov_b32_e32 v54, v55
	s_waitcnt lgkmcnt(0)
	v_lshl_add_u64 v[0:1], v[2:3], 1, v[0:1]
	v_lshl_add_u64 v[0:1], v[48:49], 1, v[0:1]
	ds_write_b64 v0, v[0:1]
	ds_write_b64 v0, v[54:55]
.LBB4_52:                               ;   in Loop: Header=BB4_49 Depth=1
	s_or_b64 exec, exec, s[18:19]
	v_and_b32_e32 v0, 12, v62
	v_cmp_ne_u32_e32 vcc, 0, v0
	s_mov_b64 s[20:21], -1
	v_lshl_add_u64 v[2:3], v[8:9], 0, 1
	s_and_saveexec_b64 s[18:19], vcc
	s_cbranch_execz .LBB4_64
; %bb.53:                               ;   in Loop: Header=BB4_49 Depth=1
	v_and_b32_e32 v54, 8, v62
	v_lshl_add_u64 v[0:1], v[38:39], 0, v[54:55]
	v_lshl_add_u64 v[10:11], v[8:9], 0, 1
	v_cmp_lt_u64_e32 vcc, v[0:1], v[10:11]
	v_mov_b32_e32 v0, 1
	s_and_saveexec_b64 s[20:21], vcc
	s_cbranch_execz .LBB4_63
; %bb.54:                               ;   in Loop: Header=BB4_49 Depth=1
	s_mov_b64 s[22:23], 0
	v_mov_b32_e32 v0, 0
                                        ; implicit-def: $sgpr50_sgpr51
	s_branch .LBB4_58
.LBB4_55:                               ;   in Loop: Header=BB4_58 Depth=2
	s_or_b64 exec, exec, s[58:59]
	v_mov_b32_e32 v1, 0
	s_orn2_b64 s[56:57], s[56:57], exec
.LBB4_56:                               ;   in Loop: Header=BB4_58 Depth=2
	s_or_b64 exec, exec, s[54:55]
	s_andn2_b64 vcc, s[50:51], exec
	s_and_b64 s[50:51], s[56:57], exec
	s_or_b64 s[50:51], vcc, s[50:51]
	v_mov_b32_e32 v0, v1
.LBB4_57:                               ;   in Loop: Header=BB4_58 Depth=2
	s_or_b64 exec, exec, s[52:53]
	s_waitcnt vmcnt(0) lgkmcnt(0)
	v_lshl_add_u64 v[12:13], v[38:39], 0, v[54:55]
	v_cmp_ge_u64_e32 vcc, v[12:13], v[10:11]
	s_xor_b64 s[52:53], s[50:51], -1
	s_or_b64 vcc, s[52:53], vcc
	s_and_b64 vcc, exec, vcc
	s_or_b64 s[22:23], vcc, s[22:23]
	s_andn2_b64 exec, exec, s[22:23]
	s_cbranch_execz .LBB4_62
.LBB4_58:                               ;   Parent Loop BB4_49 Depth=1
                                        ; =>  This Inner Loop Header: Depth=2
	s_sleep 1
	flat_load_dwordx2 v[38:39], v[34:35] sc0 sc1
	v_and_b32_e32 v1, 64, v62
	v_cmp_eq_u32_e32 vcc, 0, v1
	s_andn2_b64 s[50:51], s[50:51], exec
	s_and_saveexec_b64 s[52:53], vcc
	s_cbranch_execz .LBB4_57
; %bb.59:                               ;   in Loop: Header=BB4_58 Depth=2
	v_add_u32_e32 v1, 1, v0
	v_cmp_lt_i32_e32 vcc, s70, v0
	s_mov_b64 s[56:57], -1
	s_and_saveexec_b64 s[54:55], vcc
	s_cbranch_execz .LBB4_56
; %bb.60:                               ;   in Loop: Header=BB4_58 Depth=2
	s_trap 2
	ds_read_b64 v[0:1], v0
	s_waitcnt vmcnt(0) lgkmcnt(0)
	flat_load_dword v0, v[0:1] sc0 sc1
	s_waitcnt vmcnt(0) lgkmcnt(0)
	buffer_inv sc0 sc1
	v_cmp_ne_u32_e32 vcc, 0, v0
	s_and_saveexec_b64 s[58:59], vcc
	s_cbranch_execz .LBB4_55
; %bb.61:                               ;   in Loop: Header=BB4_58 Depth=2
	v_or_b32_e32 v62, 64, v62
	s_xor_b64 s[56:57], exec, -1
	ds_write_b32 v0, v0
	s_trap 2
	s_branch .LBB4_55
.LBB4_62:                               ;   in Loop: Header=BB4_49 Depth=1
	s_or_b64 exec, exec, s[22:23]
	v_and_b32_e32 v0, 12, v62
.LBB4_63:                               ;   in Loop: Header=BB4_49 Depth=1
	s_or_b64 exec, exec, s[20:21]
	v_cmp_eq_u32_e32 vcc, 0, v0
	s_orn2_b64 s[20:21], vcc, exec
	;;#ASMSTART
	s_wakeup
	;;#ASMEND
.LBB4_64:                               ;   in Loop: Header=BB4_49 Depth=1
	s_or_b64 exec, exec, s[18:19]
	s_xor_b64 s[18:19], s[20:21], -1
	v_min_u32_e32 v31, v31, v22
	s_and_saveexec_b64 s[20:21], s[18:19]
	s_cbranch_execz .LBB4_76
; %bb.65:                               ;   in Loop: Header=BB4_49 Depth=1
	v_and_b32_e32 v0, 0x108, v62
	v_cmp_ne_u32_e32 vcc, s71, v0
	v_and_b32_e32 v8, 7, v8
	s_and_saveexec_b64 s[18:19], vcc
	s_xor_b64 s[18:19], exec, s[18:19]
	s_andn2_saveexec_b64 s[18:19], s[18:19]
	s_cbranch_execz .LBB4_67
; %bb.66:                               ;   in Loop: Header=BB4_49 Depth=1
	v_mad_u64_u32 v[0:1], s[22:23], v8, 24, v[6:7]
	v_lshlrev_b32_e32 v10, 1, v31
	v_mov_b32_e32 v11, v55
	flat_store_dwordx2 v[0:1], v[10:11] offset:8
.LBB4_67:                               ;   in Loop: Header=BB4_49 Depth=1
	s_or_b64 exec, exec, s[18:19]
	v_and_b32_e32 v0, 0x100, v62
	v_cmp_ne_u32_e32 vcc, 0, v0
	s_mov_b64 s[18:19], -1
                                        ; implicit-def: $vgpr10_vgpr11
	s_and_saveexec_b64 s[22:23], vcc
	s_cbranch_execz .LBB4_71
; %bb.68:                               ;   in Loop: Header=BB4_49 Depth=1
	v_mad_u64_u32 v[12:13], s[18:19], v8, 24, v[6:7]
	v_mov_b32_e32 v0, v13
	v_mad_u64_u32 v[0:1], s[18:19], v55, 24, v[0:1]
	v_mov_b32_e32 v13, v0
	flat_load_dword v0, v[12:13]
                                        ; implicit-def: $vgpr10_vgpr11
	s_waitcnt vmcnt(0) lgkmcnt(0)
	v_cmp_ne_u32_e32 vcc, 1, v0
	v_cmp_eq_u32_e64 s[18:19], 1, v0
	s_and_saveexec_b64 s[50:51], s[18:19]
	s_cbranch_execz .LBB4_70
; %bb.69:                               ;   in Loop: Header=BB4_49 Depth=1
	flat_load_dword v0, v[12:13] offset:4 sc0 sc1
	s_waitcnt vmcnt(0) lgkmcnt(0)
	v_ashrrev_i32_e32 v1, 31, v0
	v_lshrrev_b64 v[10:11], 1, v[0:1]
.LBB4_70:                               ;   in Loop: Header=BB4_49 Depth=1
	s_or_b64 exec, exec, s[50:51]
	s_orn2_b64 s[18:19], vcc, exec
.LBB4_71:                               ;   in Loop: Header=BB4_49 Depth=1
	s_or_b64 exec, exec, s[22:23]
	s_and_saveexec_b64 s[22:23], s[18:19]
; %bb.72:                               ;   in Loop: Header=BB4_49 Depth=1
	v_accvgpr_read_b32 v10, a10
	v_accvgpr_read_b32 v1, a11
	v_mul_lo_u32 v0, v55, v10
	v_mul_lo_u32 v1, v8, v1
	v_mad_u64_u32 v[10:11], s[18:19], v8, v10, 0
	v_add3_u32 v11, v11, v1, v0
; %bb.73:                               ;   in Loop: Header=BB4_49 Depth=1
	s_or_b64 exec, exec, s[22:23]
	v_accvgpr_read_b32 v0, a12
	v_accvgpr_read_b32 v1, a13
	v_lshl_add_u64 v[0:1], v[10:11], 1, v[0:1]
	s_trap 2
	ds_write_b64 v0, v[0:1]
	v_and_b32_e32 v0, 0x2000, v62
	v_cmp_ne_u32_e32 vcc, 0, v0
	s_and_saveexec_b64 s[18:19], vcc
	s_cbranch_execz .LBB4_75
; %bb.74:                               ;   in Loop: Header=BB4_49 Depth=1
	ds_read_b64 v[0:1], v0 offset:584
	s_waitcnt lgkmcnt(0)
	v_lshl_add_u64 v[0:1], v[0:1], 0, 1
	ds_write_b64 v0, v[0:1] offset:584
.LBB4_75:                               ;   in Loop: Header=BB4_49 Depth=1
	s_or_b64 exec, exec, s[18:19]
	v_mov_b64_e32 v[8:9], v[2:3]
.LBB4_76:                               ;   in Loop: Header=BB4_49 Depth=1
	s_or_b64 exec, exec, s[20:21]
	s_and_saveexec_b64 s[18:19], s[6:7]
	s_cbranch_execz .LBB4_95
; %bb.77:                               ;   in Loop: Header=BB4_49 Depth=1
	s_and_saveexec_b64 s[20:21], s[34:35]
	s_xor_b64 s[20:21], exec, s[20:21]
	s_cbranch_execz .LBB4_92
; %bb.78:                               ;   in Loop: Header=BB4_49 Depth=1
	s_and_saveexec_b64 s[22:23], s[10:11]
	s_cbranch_execz .LBB4_91
; %bb.79:                               ;   in Loop: Header=BB4_49 Depth=1
	s_mov_b64 s[52:53], exec
	v_mbcnt_lo_u32_b32 v0, s52, 0
	v_mbcnt_hi_u32_b32 v0, s53, v0
	v_cmp_eq_u32_e32 vcc, 0, v0
	s_waitcnt lgkmcnt(0)
	s_and_saveexec_b64 s[50:51], vcc
	s_cbranch_execz .LBB4_81
; %bb.80:                               ;   in Loop: Header=BB4_49 Depth=1
	s_bcnt1_i32_b64 vcc_lo, s[52:53]
	v_mov_b32_e32 v54, vcc_lo
	ds_add_u64 v0, v[54:55]
	s_trap 2
.LBB4_81:                               ;   in Loop: Header=BB4_49 Depth=1
	s_or_b64 exec, exec, s[50:51]
	s_trap 2
	ds_read_b64 v[0:1], v0
	v_lshl_add_u64 v[32:33], v[32:33], 0, v[24:25]
	s_waitcnt lgkmcnt(0)
	v_cmp_lt_u64_e32 vcc, v[0:1], v[32:33]
	s_and_saveexec_b64 s[50:51], vcc
	s_cbranch_execz .LBB4_90
; %bb.82:                               ;   in Loop: Header=BB4_49 Depth=1
	s_mov_b32 s62, 0
	s_mov_b64 s[52:53], 0
                                        ; implicit-def: $sgpr54_sgpr55
                                        ; implicit-def: $sgpr56_sgpr57
	s_branch .LBB4_84
.LBB4_83:                               ;   in Loop: Header=BB4_84 Depth=2
	s_or_b64 exec, exec, s[60:61]
	s_and_b64 vcc, exec, vcc
	s_or_b64 s[52:53], vcc, s[52:53]
	s_andn2_b64 vcc, s[54:55], exec
	s_and_b64 s[54:55], s[56:57], exec
	s_or_b64 s[54:55], vcc, s[54:55]
	s_andn2_b64 exec, exec, s[52:53]
	s_cbranch_execz .LBB4_88
.LBB4_84:                               ;   Parent Loop BB4_49 Depth=1
                                        ; =>  This Inner Loop Header: Depth=2
	s_add_i32 s62, s62, 1
	s_cmpk_lg_i32 s62, 0x2710
	s_cselect_b64 s[58:59], -1, 0
	s_and_b64 vcc, exec, s[58:59]
                                        ; implicit-def: $sgpr60_sgpr61
	s_cbranch_vccnz .LBB4_86
; %bb.85:                               ;   in Loop: Header=BB4_84 Depth=2
	s_trap 2
	ds_read_b64 v[0:1], v0
	s_andn2_b64 s[58:59], s[58:59], exec
	s_mov_b32 s62, 0
	s_mov_b64 s[60:61], -1
	s_waitcnt vmcnt(0) lgkmcnt(0)
	flat_load_dword v0, v[0:1] sc0 sc1
	s_waitcnt vmcnt(0) lgkmcnt(0)
	buffer_inv sc0 sc1
	v_cmp_eq_u32_e32 vcc, 0, v0
	s_and_b64 vcc, vcc, exec
	s_or_b64 s[58:59], s[58:59], vcc
.LBB4_86:                               ;   in Loop: Header=BB4_84 Depth=2
	s_andn2_b64 s[56:57], s[56:57], exec
	s_and_b64 s[60:61], s[60:61], exec
	s_mov_b64 vcc, -1
	s_or_b64 s[56:57], s[56:57], s[60:61]
	s_and_saveexec_b64 s[60:61], s[58:59]
	s_cbranch_execz .LBB4_83
; %bb.87:                               ;   in Loop: Header=BB4_84 Depth=2
	s_sleep 1
	s_trap 2
	ds_read_b64 v[0:1], v0
	s_andn2_b64 s[56:57], s[56:57], exec
	s_waitcnt lgkmcnt(0)
	v_cmp_ge_u64_e32 vcc, v[0:1], v[32:33]
	s_orn2_b64 vcc, vcc, exec
	s_branch .LBB4_83
.LBB4_88:                               ;   in Loop: Header=BB4_49 Depth=1
	s_or_b64 exec, exec, s[52:53]
	s_and_saveexec_b64 vcc, s[54:55]
	s_xor_b64 vcc, exec, vcc
	s_cbranch_execz .LBB4_90
; %bb.89:                               ;   in Loop: Header=BB4_49 Depth=1
	v_mov_b32_e32 v0, 1
	ds_write_b32 v0, v0
	s_trap 2
.LBB4_90:                               ;   in Loop: Header=BB4_49 Depth=1
	s_or_b64 exec, exec, s[50:51]
	;;#ASMSTART
	s_wakeup
	;;#ASMEND
.LBB4_91:                               ;   in Loop: Header=BB4_49 Depth=1
	s_or_b64 exec, exec, s[22:23]
.LBB4_92:                               ;   in Loop: Header=BB4_49 Depth=1
	s_andn2_saveexec_b64 s[20:21], s[20:21]
	s_cbranch_execz .LBB4_94
; %bb.93:                               ;   in Loop: Header=BB4_49 Depth=1
	s_waitcnt lgkmcnt(0)
	s_barrier
.LBB4_94:                               ;   in Loop: Header=BB4_49 Depth=1
	s_or_b64 exec, exec, s[20:21]
.LBB4_95:                               ;   in Loop: Header=BB4_49 Depth=1
	s_or_b64 exec, exec, s[18:19]
	s_trap 2
	ds_read_b32 v0, v0
	v_and_b32_e32 v1, 0x4000, v62
	v_cmp_ne_u32_e32 vcc, 0, v1
	s_and_b64 s[20:21], s[44:45], vcc
	s_and_saveexec_b64 s[18:19], s[20:21]
	s_cbranch_execz .LBB4_114
; %bb.96:                               ;   in Loop: Header=BB4_49 Depth=1
	s_and_saveexec_b64 s[20:21], s[34:35]
	s_xor_b64 s[20:21], exec, s[20:21]
	s_cbranch_execz .LBB4_111
; %bb.97:                               ;   in Loop: Header=BB4_49 Depth=1
	s_and_saveexec_b64 s[22:23], s[10:11]
	s_cbranch_execz .LBB4_110
; %bb.98:                               ;   in Loop: Header=BB4_49 Depth=1
	s_mov_b64 s[52:53], exec
	v_mbcnt_lo_u32_b32 v1, s52, 0
	v_mbcnt_hi_u32_b32 v1, s53, v1
	v_cmp_eq_u32_e32 vcc, 0, v1
	s_waitcnt lgkmcnt(0)
	s_and_saveexec_b64 s[50:51], vcc
	s_cbranch_execz .LBB4_100
; %bb.99:                               ;   in Loop: Header=BB4_49 Depth=1
	s_bcnt1_i32_b64 vcc_lo, s[52:53]
	v_mov_b32_e32 v54, vcc_lo
	ds_add_u64 v0, v[54:55]
	s_trap 2
.LBB4_100:                              ;   in Loop: Header=BB4_49 Depth=1
	s_or_b64 exec, exec, s[50:51]
	s_trap 2
	ds_read_b64 v[2:3], v0
	v_lshl_add_u64 v[32:33], v[32:33], 0, v[24:25]
	s_waitcnt lgkmcnt(0)
	v_cmp_lt_u64_e32 vcc, v[2:3], v[32:33]
	s_and_saveexec_b64 s[50:51], vcc
	s_cbranch_execz .LBB4_109
; %bb.101:                              ;   in Loop: Header=BB4_49 Depth=1
	s_mov_b32 s62, 0
	s_mov_b64 s[52:53], 0
                                        ; implicit-def: $sgpr54_sgpr55
                                        ; implicit-def: $sgpr56_sgpr57
	s_branch .LBB4_103
.LBB4_102:                              ;   in Loop: Header=BB4_103 Depth=2
	s_or_b64 exec, exec, s[60:61]
	s_and_b64 vcc, exec, vcc
	s_or_b64 s[52:53], vcc, s[52:53]
	s_andn2_b64 vcc, s[54:55], exec
	s_and_b64 s[54:55], s[56:57], exec
	s_or_b64 s[54:55], vcc, s[54:55]
	s_andn2_b64 exec, exec, s[52:53]
	s_cbranch_execz .LBB4_107
.LBB4_103:                              ;   Parent Loop BB4_49 Depth=1
                                        ; =>  This Inner Loop Header: Depth=2
	s_add_i32 s62, s62, 1
	s_cmpk_lg_i32 s62, 0x2710
	s_cselect_b64 s[58:59], -1, 0
	s_and_b64 vcc, exec, s[58:59]
                                        ; implicit-def: $sgpr60_sgpr61
	s_cbranch_vccnz .LBB4_105
; %bb.104:                              ;   in Loop: Header=BB4_103 Depth=2
	s_trap 2
	ds_read_b64 v[2:3], v0
	s_andn2_b64 s[58:59], s[58:59], exec
	s_mov_b32 s62, 0
	s_mov_b64 s[60:61], -1
	s_waitcnt vmcnt(0) lgkmcnt(0)
	flat_load_dword v1, v[2:3] sc0 sc1
	s_waitcnt vmcnt(0) lgkmcnt(0)
	buffer_inv sc0 sc1
	v_cmp_eq_u32_e32 vcc, 0, v1
	s_and_b64 vcc, vcc, exec
	s_or_b64 s[58:59], s[58:59], vcc
.LBB4_105:                              ;   in Loop: Header=BB4_103 Depth=2
	s_andn2_b64 s[56:57], s[56:57], exec
	s_and_b64 s[60:61], s[60:61], exec
	s_mov_b64 vcc, -1
	s_or_b64 s[56:57], s[56:57], s[60:61]
	s_and_saveexec_b64 s[60:61], s[58:59]
	s_cbranch_execz .LBB4_102
; %bb.106:                              ;   in Loop: Header=BB4_103 Depth=2
	s_sleep 1
	s_trap 2
	ds_read_b64 v[2:3], v0
	s_andn2_b64 s[56:57], s[56:57], exec
	s_waitcnt lgkmcnt(0)
	v_cmp_ge_u64_e32 vcc, v[2:3], v[32:33]
	s_orn2_b64 vcc, vcc, exec
	s_branch .LBB4_102
.LBB4_107:                              ;   in Loop: Header=BB4_49 Depth=1
	s_or_b64 exec, exec, s[52:53]
	s_and_saveexec_b64 vcc, s[54:55]
	s_xor_b64 vcc, exec, vcc
	s_cbranch_execz .LBB4_109
; %bb.108:                              ;   in Loop: Header=BB4_49 Depth=1
	v_mov_b32_e32 v1, 1
	ds_write_b32 v0, v1
	s_trap 2
.LBB4_109:                              ;   in Loop: Header=BB4_49 Depth=1
	s_or_b64 exec, exec, s[50:51]
	;;#ASMSTART
	s_wakeup
	;;#ASMEND
.LBB4_110:                              ;   in Loop: Header=BB4_49 Depth=1
	s_or_b64 exec, exec, s[22:23]
.LBB4_111:                              ;   in Loop: Header=BB4_49 Depth=1
	s_andn2_saveexec_b64 s[20:21], s[20:21]
	s_cbranch_execz .LBB4_113
; %bb.112:                              ;   in Loop: Header=BB4_49 Depth=1
	s_waitcnt lgkmcnt(0)
	s_barrier
.LBB4_113:                              ;   in Loop: Header=BB4_49 Depth=1
	s_or_b64 exec, exec, s[20:21]
.LBB4_114:                              ;   in Loop: Header=BB4_49 Depth=1
	s_or_b64 exec, exec, s[18:19]
	s_trap 2
	s_waitcnt lgkmcnt(0)
	ds_read_b64 v[2:3], v0
	s_waitcnt lgkmcnt(0)
	v_readfirstlane_b32 s18, v2
	v_readfirstlane_b32 s19, v3
	s_cmp_eq_u64 s[18:19], 0
	s_cselect_b64 s[18:19], -1, 0
	s_or_b64 s[20:21], s[18:19], s[18:19]
	s_mov_b64 s[18:19], 0
	s_and_b64 vcc, exec, s[20:21]
	s_cbranch_vccnz .LBB4_435
; %bb.115:                              ;   in Loop: Header=BB4_49 Depth=1
	s_mov_b64 s[20:21], -1
	s_and_saveexec_b64 s[18:19], s[12:13]
	s_cbranch_execz .LBB4_117
; %bb.116:                              ;   in Loop: Header=BB4_49 Depth=1
	ds_read_b32 v1, v0 offset:720
	s_waitcnt lgkmcnt(0)
	v_and_b32_e32 v1, 15, v1
	v_cmp_eq_u32_e32 vcc, 0, v1
	s_orn2_b64 s[20:21], vcc, exec
.LBB4_117:                              ;   in Loop: Header=BB4_49 Depth=1
	s_or_b64 exec, exec, s[18:19]
	s_and_saveexec_b64 s[18:19], s[14:15]
	s_cbranch_execz .LBB4_119
; %bb.118:                              ;   in Loop: Header=BB4_49 Depth=1
	ds_read_b32 v1, v0 offset:784
	s_waitcnt lgkmcnt(0)
	v_and_b32_e32 v1, 15, v1
	v_cmp_eq_u32_e32 vcc, 0, v1
	s_and_b64 s[22:23], s[20:21], vcc
	s_andn2_b64 s[20:21], s[20:21], exec
	s_and_b64 s[22:23], s[22:23], exec
	s_or_b64 s[20:21], s[20:21], s[22:23]
.LBB4_119:                              ;   in Loop: Header=BB4_49 Depth=1
	s_or_b64 exec, exec, s[18:19]
	v_cmp_eq_u32_e32 vcc, 0, v0
	s_xor_b64 s[20:21], s[20:21], -1
	v_cndmask_b32_e64 v0, 0, 1, s[20:21]
	v_cndmask_b32_e32 v1, 0, v31, vcc
	v_lshlrev_b32_e32 v54, 1, v1
	s_mov_b64 s[18:19], -1
	;;#ASMSTART
	;;#ASMEND
	s_nop 0
	v_cmp_ne_u32_e32 vcc, 0, v0
	s_cbranch_vccz .LBB4_197
; %bb.120:                              ;   in Loop: Header=BB4_49 Depth=1
	s_trap 2
	ds_read_b64 a[30:31], v0
	s_mov_b64 s[50:51], -1
	s_mov_b32 s20, 0
	s_cbranch_execnz .LBB4_198
.LBB4_121:                              ;   in Loop: Header=BB4_49 Depth=1
	v_accvgpr_read_b32 v10, a18
	v_sub_u32_e32 v0, v54, v10
	s_trap 2
	ds_read_b128 v[58:61], v0
	ds_read_b64 v[12:13], v0
	v_accvgpr_write_b32 a25, v1
	v_lshrrev_b32_e32 v1, 9, v1
	v_lshlrev_b32_e32 v46, 10, v1
	v_sub_u32_e32 v47, v54, v46
	v_cmp_lt_i32_e64 s[18:19], 15, v47
	v_accvgpr_read_b32 v2, a17
	v_accvgpr_read_b32 v11, a19
	v_addc_co_u32_e64 v23, vcc, v1, v2, s[18:19]
	s_waitcnt lgkmcnt(0)
	v_accvgpr_write_b32 a31, v13
	v_accvgpr_write_b32 a30, v12
	v_lshl_add_u64 v[52:53], v[12:13], 0, v[10:11]
	v_cmp_lt_i32_e32 vcc, 15, v0
	s_mov_b64 s[22:23], 0
	s_and_saveexec_b64 s[52:53], vcc
	s_cbranch_execz .LBB4_200
; %bb.122:                              ;   in Loop: Header=BB4_49 Depth=1
	v_accvgpr_read_b32 v2, a18
	v_accvgpr_read_b32 v3, a19
	v_lshl_add_u64 v[28:29], v[58:59], 0, v[2:3]
	v_lshl_add_u64 v[26:27], v[60:61], 0, v[2:3]
	s_mov_b64 s[58:59], 0
	s_mov_b64 s[54:55], 0
                                        ; implicit-def: $sgpr56_sgpr57
	s_branch .LBB4_124
.LBB4_123:                              ;   in Loop: Header=BB4_124 Depth=2
	s_or_b64 exec, exec, s[20:21]
	v_cmp_gt_i32_e32 vcc, 16, v0
	s_or_b64 s[54:55], vcc, s[54:55]
	s_andn2_b64 s[20:21], s[56:57], exec
	s_and_b64 s[22:23], s[58:59], exec
	s_or_b64 s[56:57], s[20:21], s[22:23]
	s_andn2_b64 exec, exec, s[54:55]
	s_cbranch_execz .LBB4_199
.LBB4_124:                              ;   Parent Loop BB4_49 Depth=1
                                        ; =>  This Loop Header: Depth=2
                                        ;       Child Loop BB4_125 Depth 3
                                        ;       Child Loop BB4_162 Depth 3
	s_add_i32 s20, s33, 64
	v_mov_b32_e32 v1, s20
	s_mov_b64 s[60:61], -1
	s_mov_b64 s[62:63], 0
.LBB4_125:                              ;   Parent Loop BB4_49 Depth=1
                                        ;     Parent Loop BB4_124 Depth=2
                                        ; =>    This Inner Loop Header: Depth=3
	s_cmp_eq_u32 s62, 1
	s_cselect_b64 vcc, -1, 0
	v_cndmask_b32_e32 v3, v29, v27, vcc
	v_cndmask_b32_e32 v2, v28, v26, vcc
	global_load_dwordx4 v[14:17], v[2:3], off nt
	s_cmp_eq_u32 s62, 0
	v_lshl_add_u64 v[2:3], v[2:3], 0, s[36:37]
	s_cselect_b64 s[20:21], -1, 0
	s_and_b64 s[22:23], exec, s[60:61]
	s_mov_b64 s[62:63], 1
	s_mov_b64 s[60:61], 0
	v_cndmask_b32_e64 v29, v29, v3, s[20:21]
	v_cndmask_b32_e64 v28, v28, v2, s[20:21]
	v_cndmask_b32_e32 v27, v27, v3, vcc
	v_cndmask_b32_e32 v26, v26, v2, vcc
	s_mov_b64 vcc, s[22:23]
	s_waitcnt vmcnt(0)
	scratch_store_dwordx4 v1, v[14:17], off
	v_mov_b32_e32 v1, v36
	s_cbranch_vccnz .LBB4_125
; %bb.126:                              ;   in Loop: Header=BB4_124 Depth=2
	s_and_saveexec_b64 s[20:21], s[58:59]
	s_cbranch_execz .LBB4_160
; %bb.127:                              ;   in Loop: Header=BB4_124 Depth=2
	scratch_load_dwordx4 v[14:17], off, s33 offset:112
	scratch_load_dwordx4 v[18:21], off, s33 offset:96
	s_waitcnt vmcnt(1)
	v_lshlrev_b32_e32 v2, 16, v14
	s_waitcnt vmcnt(0)
	v_lshlrev_b32_e32 v10, 16, v18
	v_pk_mul_f32 v[2:3], v[2:3], v[10:11] op_sel_hi:[0,1]
	v_and_b32_e32 v1, 0x7f800000, v2
	v_cmp_ne_u32_e32 vcc, s72, v1
                                        ; implicit-def: $vgpr1
	s_and_saveexec_b64 s[22:23], vcc
	s_xor_b64 s[22:23], exec, s[22:23]
; %bb.128:                              ;   in Loop: Header=BB4_124 Depth=2
	v_bfe_u32 v1, v2, 16, 1
	v_add3_u32 v1, v2, v1, s73
                                        ; implicit-def: $vgpr2_vgpr3
; %bb.129:                              ;   in Loop: Header=BB4_124 Depth=2
	s_andn2_saveexec_b64 s[22:23], s[22:23]
; %bb.130:                              ;   in Loop: Header=BB4_124 Depth=2
	v_or_b32_e32 v1, 0x10000, v2
	v_cmp_eq_u32_sdwa vcc, v2, v55 src0_sel:WORD_0 src1_sel:DWORD
	s_nop 1
	v_cndmask_b32_e32 v1, v1, v2, vcc
; %bb.131:                              ;   in Loop: Header=BB4_124 Depth=2
	s_or_b64 exec, exec, s[22:23]
	v_and_b32_e32 v2, 0xffff0000, v14
	v_and_b32_e32 v10, 0xffff0000, v18
	v_pk_mul_f32 v[2:3], v[2:3], v[10:11] op_sel_hi:[0,1]
	v_and_b32_e32 v3, 0x7f800000, v2
	v_cmp_ne_u32_e32 vcc, s72, v3
                                        ; implicit-def: $vgpr18
	s_and_saveexec_b64 s[22:23], vcc
	s_xor_b64 s[22:23], exec, s[22:23]
; %bb.132:                              ;   in Loop: Header=BB4_124 Depth=2
	v_bfe_u32 v3, v2, 16, 1
	v_add3_u32 v18, v2, v3, s73
                                        ; implicit-def: $vgpr2_vgpr3
; %bb.133:                              ;   in Loop: Header=BB4_124 Depth=2
	s_andn2_saveexec_b64 s[22:23], s[22:23]
; %bb.134:                              ;   in Loop: Header=BB4_124 Depth=2
	v_or_b32_e32 v3, 0x10000, v2
	v_cmp_eq_u32_sdwa vcc, v2, v55 src0_sel:WORD_0 src1_sel:DWORD
	s_nop 1
	v_cndmask_b32_e32 v18, v3, v2, vcc
; %bb.135:                              ;   in Loop: Header=BB4_124 Depth=2
	s_or_b64 exec, exec, s[22:23]
	v_mov_b32_e32 v3, v15
	v_lshlrev_b32_e32 v2, 16, v3
	v_lshlrev_b32_e32 v10, 16, v19
	v_pk_mul_f32 v[14:15], v[2:3], v[10:11] op_sel_hi:[0,1]
	v_and_b32_e32 v2, 0x7f800000, v14
	v_cmp_ne_u32_e32 vcc, s72, v2
                                        ; implicit-def: $vgpr44
	s_and_saveexec_b64 s[22:23], vcc
	s_xor_b64 s[22:23], exec, s[22:23]
; %bb.136:                              ;   in Loop: Header=BB4_124 Depth=2
	v_bfe_u32 v2, v14, 16, 1
	v_add3_u32 v44, v14, v2, s73
                                        ; implicit-def: $vgpr14_vgpr15
; %bb.137:                              ;   in Loop: Header=BB4_124 Depth=2
	s_andn2_saveexec_b64 s[22:23], s[22:23]
; %bb.138:                              ;   in Loop: Header=BB4_124 Depth=2
	v_or_b32_e32 v2, 0x10000, v14
	v_cmp_eq_u32_sdwa vcc, v14, v55 src0_sel:WORD_0 src1_sel:DWORD
	s_nop 1
	v_cndmask_b32_e32 v44, v2, v14, vcc
; %bb.139:                              ;   in Loop: Header=BB4_124 Depth=2
	s_or_b64 exec, exec, s[22:23]
	v_and_b32_e32 v2, 0xffff0000, v3
	v_and_b32_e32 v10, 0xffff0000, v19
	v_pk_mul_f32 v[2:3], v[2:3], v[10:11] op_sel_hi:[0,1]
	v_and_b32_e32 v3, 0x7f800000, v2
	v_cmp_ne_u32_e32 vcc, s72, v3
                                        ; implicit-def: $vgpr19
	s_and_saveexec_b64 s[22:23], vcc
	s_xor_b64 s[22:23], exec, s[22:23]
; %bb.140:                              ;   in Loop: Header=BB4_124 Depth=2
	v_bfe_u32 v3, v2, 16, 1
	v_add3_u32 v19, v2, v3, s73
                                        ; implicit-def: $vgpr2_vgpr3
; %bb.141:                              ;   in Loop: Header=BB4_124 Depth=2
	s_andn2_saveexec_b64 s[22:23], s[22:23]
; %bb.142:                              ;   in Loop: Header=BB4_124 Depth=2
	v_or_b32_e32 v3, 0x10000, v2
	v_cmp_eq_u32_sdwa vcc, v2, v55 src0_sel:WORD_0 src1_sel:DWORD
	s_nop 1
	v_cndmask_b32_e32 v19, v3, v2, vcc
; %bb.143:                              ;   in Loop: Header=BB4_124 Depth=2
	s_or_b64 exec, exec, s[22:23]
	v_lshlrev_b32_e32 v2, 16, v16
	v_lshlrev_b32_e32 v10, 16, v20
	v_pk_mul_f32 v[2:3], v[2:3], v[10:11] op_sel_hi:[0,1]
	v_and_b32_e32 v3, 0x7f800000, v2
	v_cmp_ne_u32_e32 vcc, s72, v3
                                        ; implicit-def: $vgpr45
	s_and_saveexec_b64 s[22:23], vcc
	s_xor_b64 s[22:23], exec, s[22:23]
; %bb.144:                              ;   in Loop: Header=BB4_124 Depth=2
	v_bfe_u32 v3, v2, 16, 1
	v_add3_u32 v45, v2, v3, s73
                                        ; implicit-def: $vgpr2_vgpr3
; %bb.145:                              ;   in Loop: Header=BB4_124 Depth=2
	s_andn2_saveexec_b64 s[22:23], s[22:23]
; %bb.146:                              ;   in Loop: Header=BB4_124 Depth=2
	v_or_b32_e32 v3, 0x10000, v2
	v_cmp_eq_u32_sdwa vcc, v2, v55 src0_sel:WORD_0 src1_sel:DWORD
	s_nop 1
	v_cndmask_b32_e32 v45, v3, v2, vcc
; %bb.147:                              ;   in Loop: Header=BB4_124 Depth=2
	s_or_b64 exec, exec, s[22:23]
	v_and_b32_e32 v2, 0xffff0000, v16
	v_and_b32_e32 v10, 0xffff0000, v20
	v_pk_mul_f32 v[2:3], v[2:3], v[10:11] op_sel_hi:[0,1]
	v_and_b32_e32 v3, 0x7f800000, v2
	v_cmp_ne_u32_e32 vcc, s72, v3
                                        ; implicit-def: $vgpr16
	s_and_saveexec_b64 s[22:23], vcc
	s_xor_b64 s[22:23], exec, s[22:23]
; %bb.148:                              ;   in Loop: Header=BB4_124 Depth=2
	v_bfe_u32 v3, v2, 16, 1
	v_add3_u32 v16, v2, v3, s73
                                        ; implicit-def: $vgpr2_vgpr3
; %bb.149:                              ;   in Loop: Header=BB4_124 Depth=2
	s_andn2_saveexec_b64 s[22:23], s[22:23]
; %bb.150:                              ;   in Loop: Header=BB4_124 Depth=2
	v_or_b32_e32 v3, 0x10000, v2
	v_cmp_eq_u32_sdwa vcc, v2, v55 src0_sel:WORD_0 src1_sel:DWORD
	s_nop 1
	v_cndmask_b32_e32 v16, v3, v2, vcc
; %bb.151:                              ;   in Loop: Header=BB4_124 Depth=2
	s_or_b64 exec, exec, s[22:23]
	v_mov_b32_e32 v3, v21
	v_lshlrev_b32_e32 v2, 16, v17
	v_lshlrev_b32_e32 v10, 16, v3
	v_pk_mul_f32 v[14:15], v[2:3], v[10:11] op_sel_hi:[0,1]
	v_and_b32_e32 v2, 0x7f800000, v14
	v_cmp_ne_u32_e32 vcc, s72, v2
                                        ; implicit-def: $vgpr20
	s_and_saveexec_b64 s[22:23], vcc
	s_xor_b64 s[22:23], exec, s[22:23]
; %bb.152:                              ;   in Loop: Header=BB4_124 Depth=2
	v_bfe_u32 v2, v14, 16, 1
	v_add3_u32 v20, v14, v2, s73
                                        ; implicit-def: $vgpr14_vgpr15
; %bb.153:                              ;   in Loop: Header=BB4_124 Depth=2
	s_andn2_saveexec_b64 s[22:23], s[22:23]
; %bb.154:                              ;   in Loop: Header=BB4_124 Depth=2
	v_or_b32_e32 v2, 0x10000, v14
	v_cmp_eq_u32_sdwa vcc, v14, v55 src0_sel:WORD_0 src1_sel:DWORD
	s_nop 1
	v_cndmask_b32_e32 v20, v2, v14, vcc
; %bb.155:                              ;   in Loop: Header=BB4_124 Depth=2
	s_or_b64 exec, exec, s[22:23]
	v_and_b32_e32 v2, 0xffff0000, v17
	v_and_b32_e32 v10, 0xffff0000, v3
	v_pk_mul_f32 v[2:3], v[2:3], v[10:11] op_sel_hi:[0,1]
	v_and_b32_e32 v3, 0x7f800000, v2
	v_cmp_ne_u32_e32 vcc, s72, v3
                                        ; implicit-def: $vgpr14
	s_and_saveexec_b64 s[22:23], vcc
	s_xor_b64 s[22:23], exec, s[22:23]
; %bb.156:                              ;   in Loop: Header=BB4_124 Depth=2
	v_bfe_u32 v3, v2, 16, 1
	v_add3_u32 v14, v2, v3, s73
                                        ; implicit-def: $vgpr2_vgpr3
; %bb.157:                              ;   in Loop: Header=BB4_124 Depth=2
	s_andn2_saveexec_b64 s[22:23], s[22:23]
; %bb.158:                              ;   in Loop: Header=BB4_124 Depth=2
	v_or_b32_e32 v3, 0x10000, v2
	v_cmp_eq_u32_sdwa vcc, v2, v55 src0_sel:WORD_0 src1_sel:DWORD
	s_nop 1
	v_cndmask_b32_e32 v14, v3, v2, vcc
; %bb.159:                              ;   in Loop: Header=BB4_124 Depth=2
	s_or_b64 exec, exec, s[22:23]
	v_lshrrev_b32_e32 v1, 16, v1
	v_lshrrev_b32_e32 v2, 16, v44
	v_and_or_b32 v10, v18, s74, v1
	v_lshrrev_b32_e32 v1, 16, v45
	v_and_or_b32 v11, v19, s74, v2
	v_and_or_b32 v12, v16, s74, v1
	v_lshrrev_b32_e32 v1, 16, v20
	v_accvgpr_read_b32 v2, a20
	v_and_or_b32 v13, v14, s74, v1
	v_accvgpr_read_b32 v3, a21
	scratch_store_dwordx4 off, v[10:13], s33 offset:96
	global_store_dwordx4 v[52:53], v[10:13], off nt
	v_lshl_add_u64 v[52:53], v[2:3], 0, v[52:53]
.LBB4_160:                              ;   in Loop: Header=BB4_124 Depth=2
	s_or_b64 exec, exec, s[20:21]
	v_sub_u32_e32 v0, v0, v30
	v_lshl_add_u64 v[28:29], v[28:29], 0, v[42:43]
	v_lshl_add_u64 v[26:27], v[26:27], 0, v[42:43]
	v_cmp_lt_i32_e64 s[58:59], 15, v0
	s_and_saveexec_b64 s[60:61], s[58:59]
	s_cbranch_execz .LBB4_163
; %bb.161:                              ;   in Loop: Header=BB4_124 Depth=2
	s_add_i32 s20, s33, 0x60
	v_mov_b32_e32 v1, s20
	s_mov_b64 s[64:65], 0
	s_mov_b64 s[62:63], -1
.LBB4_162:                              ;   Parent Loop BB4_49 Depth=1
                                        ;     Parent Loop BB4_124 Depth=2
                                        ; =>    This Inner Loop Header: Depth=3
	s_cmp_eq_u32 s64, 1
	s_cselect_b64 vcc, -1, 0
	v_cndmask_b32_e32 v3, v29, v27, vcc
	v_cndmask_b32_e32 v2, v28, v26, vcc
	global_load_dwordx4 v[10:13], v[2:3], off nt
	s_cmp_eq_u32 s64, 0
	v_lshl_add_u64 v[2:3], v[2:3], 0, s[36:37]
	s_cselect_b64 s[20:21], -1, 0
	s_and_b64 s[22:23], exec, s[62:63]
	s_mov_b64 s[64:65], 1
	s_mov_b64 s[62:63], 0
	v_cndmask_b32_e64 v29, v29, v3, s[20:21]
	v_cndmask_b32_e64 v28, v28, v2, s[20:21]
	v_cndmask_b32_e32 v27, v27, v3, vcc
	v_cndmask_b32_e32 v26, v26, v2, vcc
	s_mov_b64 vcc, s[22:23]
	s_waitcnt vmcnt(0)
	scratch_store_dwordx4 v1, v[10:13], off
	v_mov_b32_e32 v1, v37
	s_cbranch_vccnz .LBB4_162
.LBB4_163:                              ;   in Loop: Header=BB4_124 Depth=2
	s_or_b64 exec, exec, s[60:61]
	scratch_load_dwordx4 v[14:17], off, s33 offset:80
	scratch_load_dwordx4 v[18:21], off, s33 offset:64
	s_waitcnt vmcnt(1)
	v_lshlrev_b32_e32 v2, 16, v14
	s_waitcnt vmcnt(0)
	v_lshlrev_b32_e32 v10, 16, v18
	v_pk_mul_f32 v[2:3], v[2:3], v[10:11] op_sel_hi:[0,1]
	v_and_b32_e32 v1, 0x7f800000, v2
	v_cmp_ne_u32_e32 vcc, s72, v1
                                        ; implicit-def: $vgpr1
	s_and_saveexec_b64 s[20:21], vcc
	s_xor_b64 s[20:21], exec, s[20:21]
; %bb.164:                              ;   in Loop: Header=BB4_124 Depth=2
	v_bfe_u32 v1, v2, 16, 1
	v_add3_u32 v1, v2, v1, s73
                                        ; implicit-def: $vgpr2_vgpr3
; %bb.165:                              ;   in Loop: Header=BB4_124 Depth=2
	s_andn2_saveexec_b64 s[20:21], s[20:21]
; %bb.166:                              ;   in Loop: Header=BB4_124 Depth=2
	v_or_b32_e32 v1, 0x10000, v2
	v_cmp_eq_u32_sdwa vcc, v2, v55 src0_sel:WORD_0 src1_sel:DWORD
	s_nop 1
	v_cndmask_b32_e32 v1, v1, v2, vcc
; %bb.167:                              ;   in Loop: Header=BB4_124 Depth=2
	s_or_b64 exec, exec, s[20:21]
	v_and_b32_e32 v2, 0xffff0000, v14
	v_and_b32_e32 v10, 0xffff0000, v18
	v_pk_mul_f32 v[2:3], v[2:3], v[10:11] op_sel_hi:[0,1]
	v_and_b32_e32 v3, 0x7f800000, v2
	v_cmp_ne_u32_e32 vcc, s72, v3
                                        ; implicit-def: $vgpr18
	s_and_saveexec_b64 s[20:21], vcc
	s_xor_b64 s[20:21], exec, s[20:21]
; %bb.168:                              ;   in Loop: Header=BB4_124 Depth=2
	v_bfe_u32 v3, v2, 16, 1
	v_add3_u32 v18, v2, v3, s73
                                        ; implicit-def: $vgpr2_vgpr3
; %bb.169:                              ;   in Loop: Header=BB4_124 Depth=2
	s_andn2_saveexec_b64 s[20:21], s[20:21]
; %bb.170:                              ;   in Loop: Header=BB4_124 Depth=2
	v_or_b32_e32 v3, 0x10000, v2
	v_cmp_eq_u32_sdwa vcc, v2, v55 src0_sel:WORD_0 src1_sel:DWORD
	s_nop 1
	v_cndmask_b32_e32 v18, v3, v2, vcc
; %bb.171:                              ;   in Loop: Header=BB4_124 Depth=2
	s_or_b64 exec, exec, s[20:21]
	v_mov_b32_e32 v3, v15
	v_lshlrev_b32_e32 v2, 16, v3
	v_lshlrev_b32_e32 v10, 16, v19
	v_pk_mul_f32 v[14:15], v[2:3], v[10:11] op_sel_hi:[0,1]
	v_and_b32_e32 v2, 0x7f800000, v14
	v_cmp_ne_u32_e32 vcc, s72, v2
                                        ; implicit-def: $vgpr44
	s_and_saveexec_b64 s[20:21], vcc
	s_xor_b64 s[20:21], exec, s[20:21]
; %bb.172:                              ;   in Loop: Header=BB4_124 Depth=2
	v_bfe_u32 v2, v14, 16, 1
	v_add3_u32 v44, v14, v2, s73
                                        ; implicit-def: $vgpr14_vgpr15
; %bb.173:                              ;   in Loop: Header=BB4_124 Depth=2
	s_andn2_saveexec_b64 s[20:21], s[20:21]
; %bb.174:                              ;   in Loop: Header=BB4_124 Depth=2
	v_or_b32_e32 v2, 0x10000, v14
	v_cmp_eq_u32_sdwa vcc, v14, v55 src0_sel:WORD_0 src1_sel:DWORD
	s_nop 1
	v_cndmask_b32_e32 v44, v2, v14, vcc
; %bb.175:                              ;   in Loop: Header=BB4_124 Depth=2
	s_or_b64 exec, exec, s[20:21]
	v_and_b32_e32 v2, 0xffff0000, v3
	v_and_b32_e32 v10, 0xffff0000, v19
	v_pk_mul_f32 v[2:3], v[2:3], v[10:11] op_sel_hi:[0,1]
	v_and_b32_e32 v3, 0x7f800000, v2
	v_cmp_ne_u32_e32 vcc, s72, v3
                                        ; implicit-def: $vgpr19
	s_and_saveexec_b64 s[20:21], vcc
	s_xor_b64 s[20:21], exec, s[20:21]
; %bb.176:                              ;   in Loop: Header=BB4_124 Depth=2
	v_bfe_u32 v3, v2, 16, 1
	v_add3_u32 v19, v2, v3, s73
                                        ; implicit-def: $vgpr2_vgpr3
; %bb.177:                              ;   in Loop: Header=BB4_124 Depth=2
	s_andn2_saveexec_b64 s[20:21], s[20:21]
; %bb.178:                              ;   in Loop: Header=BB4_124 Depth=2
	v_or_b32_e32 v3, 0x10000, v2
	v_cmp_eq_u32_sdwa vcc, v2, v55 src0_sel:WORD_0 src1_sel:DWORD
	s_nop 1
	v_cndmask_b32_e32 v19, v3, v2, vcc
; %bb.179:                              ;   in Loop: Header=BB4_124 Depth=2
	s_or_b64 exec, exec, s[20:21]
	v_lshlrev_b32_e32 v2, 16, v16
	v_lshlrev_b32_e32 v10, 16, v20
	v_pk_mul_f32 v[2:3], v[2:3], v[10:11] op_sel_hi:[0,1]
	v_and_b32_e32 v3, 0x7f800000, v2
	v_cmp_ne_u32_e32 vcc, s72, v3
                                        ; implicit-def: $vgpr45
	s_and_saveexec_b64 s[20:21], vcc
	s_xor_b64 s[20:21], exec, s[20:21]
; %bb.180:                              ;   in Loop: Header=BB4_124 Depth=2
	v_bfe_u32 v3, v2, 16, 1
	v_add3_u32 v45, v2, v3, s73
                                        ; implicit-def: $vgpr2_vgpr3
; %bb.181:                              ;   in Loop: Header=BB4_124 Depth=2
	s_andn2_saveexec_b64 s[20:21], s[20:21]
; %bb.182:                              ;   in Loop: Header=BB4_124 Depth=2
	v_or_b32_e32 v3, 0x10000, v2
	v_cmp_eq_u32_sdwa vcc, v2, v55 src0_sel:WORD_0 src1_sel:DWORD
	s_nop 1
	v_cndmask_b32_e32 v45, v3, v2, vcc
; %bb.183:                              ;   in Loop: Header=BB4_124 Depth=2
	s_or_b64 exec, exec, s[20:21]
	v_and_b32_e32 v2, 0xffff0000, v16
	v_and_b32_e32 v10, 0xffff0000, v20
	v_pk_mul_f32 v[2:3], v[2:3], v[10:11] op_sel_hi:[0,1]
	v_and_b32_e32 v3, 0x7f800000, v2
	v_cmp_ne_u32_e32 vcc, s72, v3
                                        ; implicit-def: $vgpr16
	s_and_saveexec_b64 s[20:21], vcc
	s_xor_b64 s[20:21], exec, s[20:21]
; %bb.184:                              ;   in Loop: Header=BB4_124 Depth=2
	v_bfe_u32 v3, v2, 16, 1
	v_add3_u32 v16, v2, v3, s73
                                        ; implicit-def: $vgpr2_vgpr3
; %bb.185:                              ;   in Loop: Header=BB4_124 Depth=2
	s_andn2_saveexec_b64 s[20:21], s[20:21]
; %bb.186:                              ;   in Loop: Header=BB4_124 Depth=2
	v_or_b32_e32 v3, 0x10000, v2
	v_cmp_eq_u32_sdwa vcc, v2, v55 src0_sel:WORD_0 src1_sel:DWORD
	s_nop 1
	v_cndmask_b32_e32 v16, v3, v2, vcc
; %bb.187:                              ;   in Loop: Header=BB4_124 Depth=2
	s_or_b64 exec, exec, s[20:21]
	v_mov_b32_e32 v3, v21
	v_lshlrev_b32_e32 v2, 16, v17
	v_lshlrev_b32_e32 v10, 16, v3
	v_pk_mul_f32 v[14:15], v[2:3], v[10:11] op_sel_hi:[0,1]
	v_and_b32_e32 v2, 0x7f800000, v14
	v_cmp_ne_u32_e32 vcc, s72, v2
                                        ; implicit-def: $vgpr20
	s_and_saveexec_b64 s[20:21], vcc
	s_xor_b64 s[20:21], exec, s[20:21]
; %bb.188:                              ;   in Loop: Header=BB4_124 Depth=2
	v_bfe_u32 v2, v14, 16, 1
	v_add3_u32 v20, v14, v2, s73
                                        ; implicit-def: $vgpr14_vgpr15
; %bb.189:                              ;   in Loop: Header=BB4_124 Depth=2
	s_andn2_saveexec_b64 s[20:21], s[20:21]
; %bb.190:                              ;   in Loop: Header=BB4_124 Depth=2
	v_or_b32_e32 v2, 0x10000, v14
	v_cmp_eq_u32_sdwa vcc, v14, v55 src0_sel:WORD_0 src1_sel:DWORD
	s_nop 1
	v_cndmask_b32_e32 v20, v2, v14, vcc
; %bb.191:                              ;   in Loop: Header=BB4_124 Depth=2
	s_or_b64 exec, exec, s[20:21]
	v_and_b32_e32 v2, 0xffff0000, v17
	v_and_b32_e32 v10, 0xffff0000, v3
	v_pk_mul_f32 v[2:3], v[2:3], v[10:11] op_sel_hi:[0,1]
	v_and_b32_e32 v3, 0x7f800000, v2
	v_cmp_ne_u32_e32 vcc, s72, v3
                                        ; implicit-def: $vgpr14
	s_and_saveexec_b64 s[20:21], vcc
	s_xor_b64 s[20:21], exec, s[20:21]
; %bb.192:                              ;   in Loop: Header=BB4_124 Depth=2
	v_bfe_u32 v3, v2, 16, 1
	v_add3_u32 v14, v2, v3, s73
                                        ; implicit-def: $vgpr2_vgpr3
; %bb.193:                              ;   in Loop: Header=BB4_124 Depth=2
	s_andn2_saveexec_b64 s[20:21], s[20:21]
; %bb.194:                              ;   in Loop: Header=BB4_124 Depth=2
	v_or_b32_e32 v3, 0x10000, v2
	v_cmp_eq_u32_sdwa vcc, v2, v55 src0_sel:WORD_0 src1_sel:DWORD
	s_nop 1
	v_cndmask_b32_e32 v14, v3, v2, vcc
; %bb.195:                              ;   in Loop: Header=BB4_124 Depth=2
	s_or_b64 exec, exec, s[20:21]
	v_lshrrev_b32_e32 v1, 16, v1
	v_and_or_b32 v10, v18, s74, v1
	v_lshrrev_b32_e32 v1, 16, v45
	v_lshrrev_b32_e32 v2, 16, v44
	v_and_or_b32 v12, v16, s74, v1
	v_lshrrev_b32_e32 v1, 16, v20
	v_and_or_b32 v11, v19, s74, v2
	v_and_or_b32 v13, v14, s74, v1
	v_sub_u32_e32 v23, v23, v24
	scratch_store_dwordx4 off, v[10:13], s33 offset:64
	global_store_dwordx4 v[52:53], v[10:13], off nt
	v_lshl_add_u64 v[52:53], v[52:53], 0, s[36:37]
	s_and_saveexec_b64 s[20:21], s[58:59]
	s_cbranch_execz .LBB4_123
; %bb.196:                              ;   in Loop: Header=BB4_124 Depth=2
	v_lshl_add_u64 v[28:29], v[28:29], 0, v[42:43]
	v_lshl_add_u64 v[26:27], v[26:27], 0, v[42:43]
	;; [unrolled: 1-line block ×3, first 2 shown]
	v_sub_u32_e32 v0, v0, v30
	v_sub_u32_e32 v23, v23, v24
	s_branch .LBB4_123
.LBB4_197:                              ;   in Loop: Header=BB4_49 Depth=1
	s_mov_b64 s[50:51], 0
                                        ; implicit-def: $sgpr20
                                        ; implicit-def: $agpr30_agpr31
	s_andn2_b64 vcc, exec, s[18:19]
	s_cbranch_vccz .LBB4_121
.LBB4_198:                              ;   in Loop: Header=BB4_49 Depth=1
	v_mov_b32_e32 v0, s20
	v_accvgpr_write_b32 a25, v1
	v_accvgpr_read_b32 v2, a9
	v_accvgpr_read_b32 v1, a16
	s_and_saveexec_b64 s[22:23], s[50:51]
	s_cbranch_execnz .LBB4_350
	s_branch .LBB4_434
.LBB4_199:                              ;   in Loop: Header=BB4_49 Depth=1
	s_or_b64 exec, exec, s[54:55]
	s_and_b64 s[22:23], s[56:57], exec
.LBB4_200:                              ;   in Loop: Header=BB4_49 Depth=1
	s_or_b64 exec, exec, s[52:53]
	s_and_saveexec_b64 s[20:21], s[22:23]
	s_cbranch_execz .LBB4_234
; %bb.201:                              ;   in Loop: Header=BB4_49 Depth=1
	scratch_load_dwordx4 v[14:17], off, s33 offset:112
	scratch_load_dwordx4 v[18:21], off, s33 offset:96
	s_waitcnt vmcnt(0)
	v_lshlrev_b32_e32 v0, 16, v14
	v_lshlrev_b32_e32 v2, 16, v18
	v_pk_mul_f32 v[2:3], v[0:1], v[2:3] op_sel_hi:[0,1]
	v_and_b32_e32 v0, 0x7f800000, v2
	v_cmp_ne_u32_e32 vcc, s72, v0
                                        ; implicit-def: $vgpr0
	s_and_saveexec_b64 s[22:23], vcc
	s_xor_b64 s[22:23], exec, s[22:23]
; %bb.202:                              ;   in Loop: Header=BB4_49 Depth=1
	v_bfe_u32 v0, v2, 16, 1
	v_add3_u32 v0, v2, v0, s73
                                        ; implicit-def: $vgpr2_vgpr3
; %bb.203:                              ;   in Loop: Header=BB4_49 Depth=1
	s_andn2_saveexec_b64 s[22:23], s[22:23]
; %bb.204:                              ;   in Loop: Header=BB4_49 Depth=1
	v_or_b32_e32 v0, 0x10000, v2
	v_cmp_eq_u32_sdwa vcc, v2, v55 src0_sel:WORD_0 src1_sel:DWORD
	s_nop 1
	v_cndmask_b32_e32 v0, v0, v2, vcc
; %bb.205:                              ;   in Loop: Header=BB4_49 Depth=1
	s_or_b64 exec, exec, s[22:23]
	v_and_b32_e32 v2, 0xffff0000, v14
	v_and_b32_e32 v10, 0xffff0000, v18
	v_pk_mul_f32 v[2:3], v[2:3], v[10:11] op_sel_hi:[0,1]
	v_and_b32_e32 v1, 0x7f800000, v2
	v_cmp_ne_u32_e32 vcc, s72, v1
                                        ; implicit-def: $vgpr1
	s_and_saveexec_b64 s[22:23], vcc
	s_xor_b64 s[22:23], exec, s[22:23]
; %bb.206:                              ;   in Loop: Header=BB4_49 Depth=1
	v_bfe_u32 v1, v2, 16, 1
	v_add3_u32 v1, v2, v1, s73
                                        ; implicit-def: $vgpr2_vgpr3
; %bb.207:                              ;   in Loop: Header=BB4_49 Depth=1
	s_andn2_saveexec_b64 s[22:23], s[22:23]
; %bb.208:                              ;   in Loop: Header=BB4_49 Depth=1
	v_or_b32_e32 v1, 0x10000, v2
	v_cmp_eq_u32_sdwa vcc, v2, v55 src0_sel:WORD_0 src1_sel:DWORD
	s_nop 1
	v_cndmask_b32_e32 v1, v1, v2, vcc
; %bb.209:                              ;   in Loop: Header=BB4_49 Depth=1
	s_or_b64 exec, exec, s[22:23]
	v_mov_b32_e32 v3, v15
	v_lshlrev_b32_e32 v2, 16, v3
	v_lshlrev_b32_e32 v10, 16, v19
	v_pk_mul_f32 v[14:15], v[2:3], v[10:11] op_sel_hi:[0,1]
	v_and_b32_e32 v2, 0x7f800000, v14
	v_cmp_ne_u32_e32 vcc, s72, v2
                                        ; implicit-def: $vgpr18
	s_and_saveexec_b64 s[22:23], vcc
	s_xor_b64 s[22:23], exec, s[22:23]
; %bb.210:                              ;   in Loop: Header=BB4_49 Depth=1
	v_bfe_u32 v2, v14, 16, 1
	v_add3_u32 v18, v14, v2, s73
                                        ; implicit-def: $vgpr14_vgpr15
; %bb.211:                              ;   in Loop: Header=BB4_49 Depth=1
	s_andn2_saveexec_b64 s[22:23], s[22:23]
; %bb.212:                              ;   in Loop: Header=BB4_49 Depth=1
	v_or_b32_e32 v2, 0x10000, v14
	v_cmp_eq_u32_sdwa vcc, v14, v55 src0_sel:WORD_0 src1_sel:DWORD
	s_nop 1
	v_cndmask_b32_e32 v18, v2, v14, vcc
; %bb.213:                              ;   in Loop: Header=BB4_49 Depth=1
	s_or_b64 exec, exec, s[22:23]
	v_and_b32_e32 v2, 0xffff0000, v3
	v_and_b32_e32 v10, 0xffff0000, v19
	v_pk_mul_f32 v[2:3], v[2:3], v[10:11] op_sel_hi:[0,1]
	v_and_b32_e32 v3, 0x7f800000, v2
	v_cmp_ne_u32_e32 vcc, s72, v3
                                        ; implicit-def: $vgpr19
	s_and_saveexec_b64 s[22:23], vcc
	s_xor_b64 s[22:23], exec, s[22:23]
; %bb.214:                              ;   in Loop: Header=BB4_49 Depth=1
	v_bfe_u32 v3, v2, 16, 1
	v_add3_u32 v19, v2, v3, s73
                                        ; implicit-def: $vgpr2_vgpr3
; %bb.215:                              ;   in Loop: Header=BB4_49 Depth=1
	s_andn2_saveexec_b64 s[22:23], s[22:23]
; %bb.216:                              ;   in Loop: Header=BB4_49 Depth=1
	v_or_b32_e32 v3, 0x10000, v2
	v_cmp_eq_u32_sdwa vcc, v2, v55 src0_sel:WORD_0 src1_sel:DWORD
	s_nop 1
	v_cndmask_b32_e32 v19, v3, v2, vcc
; %bb.217:                              ;   in Loop: Header=BB4_49 Depth=1
	s_or_b64 exec, exec, s[22:23]
	v_lshlrev_b32_e32 v2, 16, v16
	v_lshlrev_b32_e32 v10, 16, v20
	v_pk_mul_f32 v[2:3], v[2:3], v[10:11] op_sel_hi:[0,1]
	v_and_b32_e32 v3, 0x7f800000, v2
	v_cmp_ne_u32_e32 vcc, s72, v3
                                        ; implicit-def: $vgpr26
	s_and_saveexec_b64 s[22:23], vcc
	s_xor_b64 s[22:23], exec, s[22:23]
; %bb.218:                              ;   in Loop: Header=BB4_49 Depth=1
	v_bfe_u32 v3, v2, 16, 1
	v_add3_u32 v26, v2, v3, s73
                                        ; implicit-def: $vgpr2_vgpr3
; %bb.219:                              ;   in Loop: Header=BB4_49 Depth=1
	s_andn2_saveexec_b64 s[22:23], s[22:23]
; %bb.220:                              ;   in Loop: Header=BB4_49 Depth=1
	v_or_b32_e32 v3, 0x10000, v2
	v_cmp_eq_u32_sdwa vcc, v2, v55 src0_sel:WORD_0 src1_sel:DWORD
	s_nop 1
	v_cndmask_b32_e32 v26, v3, v2, vcc
; %bb.221:                              ;   in Loop: Header=BB4_49 Depth=1
	s_or_b64 exec, exec, s[22:23]
	v_and_b32_e32 v2, 0xffff0000, v16
	v_and_b32_e32 v10, 0xffff0000, v20
	v_pk_mul_f32 v[2:3], v[2:3], v[10:11] op_sel_hi:[0,1]
	v_and_b32_e32 v3, 0x7f800000, v2
	v_cmp_ne_u32_e32 vcc, s72, v3
                                        ; implicit-def: $vgpr16
	s_and_saveexec_b64 s[22:23], vcc
	s_xor_b64 s[22:23], exec, s[22:23]
; %bb.222:                              ;   in Loop: Header=BB4_49 Depth=1
	v_bfe_u32 v3, v2, 16, 1
	v_add3_u32 v16, v2, v3, s73
                                        ; implicit-def: $vgpr2_vgpr3
; %bb.223:                              ;   in Loop: Header=BB4_49 Depth=1
	s_andn2_saveexec_b64 s[22:23], s[22:23]
; %bb.224:                              ;   in Loop: Header=BB4_49 Depth=1
	v_or_b32_e32 v3, 0x10000, v2
	v_cmp_eq_u32_sdwa vcc, v2, v55 src0_sel:WORD_0 src1_sel:DWORD
	s_nop 1
	v_cndmask_b32_e32 v16, v3, v2, vcc
; %bb.225:                              ;   in Loop: Header=BB4_49 Depth=1
	s_or_b64 exec, exec, s[22:23]
	v_mov_b32_e32 v3, v21
	v_lshlrev_b32_e32 v2, 16, v17
	v_lshlrev_b32_e32 v10, 16, v3
	v_pk_mul_f32 v[14:15], v[2:3], v[10:11] op_sel_hi:[0,1]
	v_and_b32_e32 v2, 0x7f800000, v14
	v_cmp_ne_u32_e32 vcc, s72, v2
                                        ; implicit-def: $vgpr20
	s_and_saveexec_b64 s[22:23], vcc
	s_xor_b64 s[22:23], exec, s[22:23]
; %bb.226:                              ;   in Loop: Header=BB4_49 Depth=1
	v_bfe_u32 v2, v14, 16, 1
	v_add3_u32 v20, v14, v2, s73
                                        ; implicit-def: $vgpr14_vgpr15
; %bb.227:                              ;   in Loop: Header=BB4_49 Depth=1
	s_andn2_saveexec_b64 s[22:23], s[22:23]
; %bb.228:                              ;   in Loop: Header=BB4_49 Depth=1
	v_or_b32_e32 v2, 0x10000, v14
	v_cmp_eq_u32_sdwa vcc, v14, v55 src0_sel:WORD_0 src1_sel:DWORD
	s_nop 1
	v_cndmask_b32_e32 v20, v2, v14, vcc
; %bb.229:                              ;   in Loop: Header=BB4_49 Depth=1
	s_or_b64 exec, exec, s[22:23]
	v_and_b32_e32 v2, 0xffff0000, v17
	v_and_b32_e32 v10, 0xffff0000, v3
	v_pk_mul_f32 v[2:3], v[2:3], v[10:11] op_sel_hi:[0,1]
	v_and_b32_e32 v3, 0x7f800000, v2
	v_cmp_ne_u32_e32 vcc, s72, v3
                                        ; implicit-def: $vgpr14
	s_and_saveexec_b64 s[22:23], vcc
	s_xor_b64 s[22:23], exec, s[22:23]
; %bb.230:                              ;   in Loop: Header=BB4_49 Depth=1
	v_bfe_u32 v3, v2, 16, 1
	v_add3_u32 v14, v2, v3, s73
                                        ; implicit-def: $vgpr2_vgpr3
; %bb.231:                              ;   in Loop: Header=BB4_49 Depth=1
	s_andn2_saveexec_b64 s[22:23], s[22:23]
; %bb.232:                              ;   in Loop: Header=BB4_49 Depth=1
	v_or_b32_e32 v3, 0x10000, v2
	v_cmp_eq_u32_sdwa vcc, v2, v55 src0_sel:WORD_0 src1_sel:DWORD
	s_nop 1
	v_cndmask_b32_e32 v14, v3, v2, vcc
; %bb.233:                              ;   in Loop: Header=BB4_49 Depth=1
	s_or_b64 exec, exec, s[22:23]
	v_lshrrev_b32_e32 v0, 16, v0
	v_and_or_b32 v10, v1, s74, v0
	v_lshrrev_b32_e32 v0, 16, v26
	v_lshrrev_b32_e32 v2, 16, v18
	v_and_or_b32 v12, v16, s74, v0
	v_lshrrev_b32_e32 v0, 16, v20
	v_and_or_b32 v11, v19, s74, v2
	v_and_or_b32 v13, v14, s74, v0
	global_store_dwordx4 v[52:53], v[10:13], off nt
.LBB4_234:                              ;   in Loop: Header=BB4_49 Depth=1
	s_or_b64 exec, exec, s[20:21]
	v_and_b32_e32 v3, 14, v54
	v_cndmask_b32_e64 v29, v47, v3, s[18:19]
	v_cmp_ne_u32_e32 vcc, 0, v29
                                        ; implicit-def: $vgpr54
                                        ; implicit-def: $vgpr0
                                        ; implicit-def: $vgpr2
                                        ; implicit-def: $vgpr1
	s_and_saveexec_b64 s[52:53], vcc
	s_cbranch_execz .LBB4_349
; %bb.235:                              ;   in Loop: Header=BB4_49 Depth=1
	v_sub_u32_e32 v0, v47, v3
	v_cndmask_b32_e64 v0, 0, v0, s[18:19]
	v_cmp_lt_i32_e32 vcc, 0, v23
	v_add_u32_e32 v21, v0, v46
	v_accvgpr_read_b32 v1, a16
	v_cndmask_b32_e32 v0, 0, v24, vcc
	v_sub_u32_e32 v0, v0, v23
	v_lshl_add_u32 v0, v0, 6, v1
	v_ashrrev_i32_e32 v1, 31, v0
	v_lshrrev_b32_e32 v1, 26, v1
	v_add_u32_e32 v1, v0, v1
	v_ashrrev_i32_e32 v10, 6, v1
	v_and_b32_e32 v1, 0xffffffc0, v1
	v_sub_u32_e32 v52, v0, v1
	v_ashrrev_i32_e32 v1, 31, v29
	v_lshrrev_b32_e32 v1, 22, v1
	v_add_u32_e32 v1, v29, v1
	v_and_b32_e32 v23, 0xfffffc00, v1
	v_sub_u32_e32 v53, v29, v23
	v_lshlrev_b32_e32 v0, 4, v52
	v_ashrrev_i32_e32 v3, 10, v1
	v_cmp_lt_i32_e64 s[18:19], 15, v53
	v_lshl_add_u32 v0, v10, 10, v0
	v_add_u32_e32 v2, v0, v21
	v_addc_co_u32_e64 v1, vcc, 0, v3, s[18:19]
	v_sub_u32_e32 v28, v1, v10
	v_accvgpr_read_b32 v10, a30
	v_sub_u32_e32 v0, v29, v0
	v_ashrrev_i32_e32 v3, 31, v2
	v_accvgpr_read_b32 v11, a31
	v_lshl_add_u64 v[18:19], v[2:3], 0, v[10:11]
	v_cmp_lt_i32_e32 vcc, 15, v0
	s_mov_b64 s[22:23], 0
	s_and_saveexec_b64 s[54:55], vcc
	s_cbranch_execz .LBB4_312
; %bb.236:                              ;   in Loop: Header=BB4_49 Depth=1
	v_mov_b32_e32 v45, v21
	v_lshl_add_u64 v[20:21], v[2:3], 0, v[58:59]
	v_lshl_add_u64 v[26:27], v[2:3], 0, v[60:61]
	s_mov_b64 s[60:61], 0
	s_mov_b64 s[56:57], 0
                                        ; implicit-def: $sgpr58_sgpr59
	s_branch .LBB4_238
.LBB4_237:                              ;   in Loop: Header=BB4_238 Depth=2
	s_or_b64 exec, exec, s[20:21]
	v_cmp_gt_i32_e32 vcc, 16, v0
	s_or_b64 s[56:57], vcc, s[56:57]
	s_andn2_b64 s[20:21], s[58:59], exec
	s_and_b64 s[22:23], s[60:61], exec
	s_or_b64 s[58:59], s[20:21], s[22:23]
	s_andn2_b64 exec, exec, s[56:57]
	s_cbranch_execz .LBB4_311
.LBB4_238:                              ;   Parent Loop BB4_49 Depth=1
                                        ; =>  This Loop Header: Depth=2
                                        ;       Child Loop BB4_239 Depth 3
                                        ;       Child Loop BB4_276 Depth 3
	s_add_i32 s20, s33, 64
	v_mov_b32_e32 v1, s20
	s_mov_b64 s[62:63], -1
	s_mov_b64 s[64:65], 0
.LBB4_239:                              ;   Parent Loop BB4_49 Depth=1
                                        ;     Parent Loop BB4_238 Depth=2
                                        ; =>    This Inner Loop Header: Depth=3
	s_cmp_eq_u32 s64, 1
	s_cselect_b64 vcc, -1, 0
	v_cndmask_b32_e32 v3, v21, v27, vcc
	v_cndmask_b32_e32 v2, v20, v26, vcc
	global_load_dwordx4 v[10:13], v[2:3], off nt
	s_cmp_eq_u32 s64, 0
	v_lshl_add_u64 v[2:3], v[2:3], 0, s[36:37]
	s_cselect_b64 s[20:21], -1, 0
	s_and_b64 s[22:23], exec, s[62:63]
	s_mov_b64 s[64:65], 1
	s_mov_b64 s[62:63], 0
	v_cndmask_b32_e64 v21, v21, v3, s[20:21]
	v_cndmask_b32_e64 v20, v20, v2, s[20:21]
	v_cndmask_b32_e32 v27, v27, v3, vcc
	v_cndmask_b32_e32 v26, v26, v2, vcc
	s_mov_b64 vcc, s[22:23]
	s_waitcnt vmcnt(0)
	scratch_store_dwordx4 v1, v[10:13], off
	v_mov_b32_e32 v1, v41
	s_cbranch_vccnz .LBB4_239
; %bb.240:                              ;   in Loop: Header=BB4_238 Depth=2
	s_and_saveexec_b64 s[20:21], s[60:61]
	s_cbranch_execz .LBB4_274
; %bb.241:                              ;   in Loop: Header=BB4_238 Depth=2
	scratch_load_dwordx4 v[10:13], off, s33 offset:112
	scratch_load_dwordx4 v[14:17], off, s33 offset:96
	s_waitcnt vmcnt(1)
	v_lshlrev_b32_e32 v2, 16, v10
	s_waitcnt vmcnt(0)
	v_lshlrev_b32_e32 v54, 16, v14
	v_pk_mul_f32 v[2:3], v[2:3], v[54:55] op_sel_hi:[0,1]
	v_and_b32_e32 v1, 0x7f800000, v2
	v_cmp_ne_u32_e32 vcc, s72, v1
                                        ; implicit-def: $vgpr1
	s_and_saveexec_b64 s[22:23], vcc
	s_xor_b64 s[22:23], exec, s[22:23]
; %bb.242:                              ;   in Loop: Header=BB4_238 Depth=2
	v_bfe_u32 v1, v2, 16, 1
	v_add3_u32 v1, v2, v1, s73
                                        ; implicit-def: $vgpr2_vgpr3
; %bb.243:                              ;   in Loop: Header=BB4_238 Depth=2
	s_andn2_saveexec_b64 s[22:23], s[22:23]
; %bb.244:                              ;   in Loop: Header=BB4_238 Depth=2
	v_or_b32_e32 v1, 0x10000, v2
	v_cmp_eq_u32_sdwa vcc, v2, v55 src0_sel:WORD_0 src1_sel:DWORD
	s_nop 1
	v_cndmask_b32_e32 v1, v1, v2, vcc
; %bb.245:                              ;   in Loop: Header=BB4_238 Depth=2
	s_or_b64 exec, exec, s[22:23]
	v_and_b32_e32 v2, 0xffff0000, v10
	v_and_b32_e32 v10, 0xffff0000, v14
	v_pk_mul_f32 v[2:3], v[2:3], v[10:11] op_sel_hi:[0,1]
	v_and_b32_e32 v3, 0x7f800000, v2
	v_cmp_ne_u32_e32 vcc, s72, v3
                                        ; implicit-def: $vgpr14
	s_and_saveexec_b64 s[22:23], vcc
	s_xor_b64 s[22:23], exec, s[22:23]
; %bb.246:                              ;   in Loop: Header=BB4_238 Depth=2
	v_bfe_u32 v3, v2, 16, 1
	v_add3_u32 v14, v2, v3, s73
                                        ; implicit-def: $vgpr2_vgpr3
; %bb.247:                              ;   in Loop: Header=BB4_238 Depth=2
	s_andn2_saveexec_b64 s[22:23], s[22:23]
; %bb.248:                              ;   in Loop: Header=BB4_238 Depth=2
	v_or_b32_e32 v3, 0x10000, v2
	v_cmp_eq_u32_sdwa vcc, v2, v55 src0_sel:WORD_0 src1_sel:DWORD
	s_nop 1
	v_cndmask_b32_e32 v14, v3, v2, vcc
; %bb.249:                              ;   in Loop: Header=BB4_238 Depth=2
	s_or_b64 exec, exec, s[22:23]
	v_mov_b32_e32 v3, v11
	v_lshlrev_b32_e32 v2, 16, v3
	v_lshlrev_b32_e32 v10, 16, v15
	v_pk_mul_f32 v[10:11], v[2:3], v[10:11] op_sel_hi:[0,1]
	v_and_b32_e32 v2, 0x7f800000, v10
	v_cmp_ne_u32_e32 vcc, s72, v2
                                        ; implicit-def: $vgpr54
	s_and_saveexec_b64 s[22:23], vcc
	s_xor_b64 s[22:23], exec, s[22:23]
; %bb.250:                              ;   in Loop: Header=BB4_238 Depth=2
	v_bfe_u32 v2, v10, 16, 1
	v_add3_u32 v54, v10, v2, s73
                                        ; implicit-def: $vgpr10_vgpr11
; %bb.251:                              ;   in Loop: Header=BB4_238 Depth=2
	s_andn2_saveexec_b64 s[22:23], s[22:23]
; %bb.252:                              ;   in Loop: Header=BB4_238 Depth=2
	v_or_b32_e32 v2, 0x10000, v10
	v_cmp_eq_u32_sdwa vcc, v10, v55 src0_sel:WORD_0 src1_sel:DWORD
	s_nop 1
	v_cndmask_b32_e32 v54, v2, v10, vcc
; %bb.253:                              ;   in Loop: Header=BB4_238 Depth=2
	s_or_b64 exec, exec, s[22:23]
	v_and_b32_e32 v2, 0xffff0000, v3
	v_and_b32_e32 v10, 0xffff0000, v15
	v_pk_mul_f32 v[2:3], v[2:3], v[10:11] op_sel_hi:[0,1]
	v_and_b32_e32 v3, 0x7f800000, v2
	v_cmp_ne_u32_e32 vcc, s72, v3
                                        ; implicit-def: $vgpr15
	s_and_saveexec_b64 s[22:23], vcc
	s_xor_b64 s[22:23], exec, s[22:23]
; %bb.254:                              ;   in Loop: Header=BB4_238 Depth=2
	v_bfe_u32 v3, v2, 16, 1
	v_add3_u32 v15, v2, v3, s73
                                        ; implicit-def: $vgpr2_vgpr3
; %bb.255:                              ;   in Loop: Header=BB4_238 Depth=2
	s_andn2_saveexec_b64 s[22:23], s[22:23]
; %bb.256:                              ;   in Loop: Header=BB4_238 Depth=2
	v_or_b32_e32 v3, 0x10000, v2
	v_cmp_eq_u32_sdwa vcc, v2, v55 src0_sel:WORD_0 src1_sel:DWORD
	s_nop 1
	v_cndmask_b32_e32 v15, v3, v2, vcc
; %bb.257:                              ;   in Loop: Header=BB4_238 Depth=2
	s_or_b64 exec, exec, s[22:23]
	v_lshlrev_b32_e32 v2, 16, v12
	v_lshlrev_b32_e32 v10, 16, v16
	v_pk_mul_f32 v[2:3], v[2:3], v[10:11] op_sel_hi:[0,1]
	v_and_b32_e32 v3, 0x7f800000, v2
	v_cmp_ne_u32_e32 vcc, s72, v3
                                        ; implicit-def: $vgpr44
	s_and_saveexec_b64 s[22:23], vcc
	s_xor_b64 s[22:23], exec, s[22:23]
; %bb.258:                              ;   in Loop: Header=BB4_238 Depth=2
	v_bfe_u32 v3, v2, 16, 1
	v_add3_u32 v44, v2, v3, s73
                                        ; implicit-def: $vgpr2_vgpr3
; %bb.259:                              ;   in Loop: Header=BB4_238 Depth=2
	s_andn2_saveexec_b64 s[22:23], s[22:23]
; %bb.260:                              ;   in Loop: Header=BB4_238 Depth=2
	v_or_b32_e32 v3, 0x10000, v2
	v_cmp_eq_u32_sdwa vcc, v2, v55 src0_sel:WORD_0 src1_sel:DWORD
	s_nop 1
	v_cndmask_b32_e32 v44, v3, v2, vcc
; %bb.261:                              ;   in Loop: Header=BB4_238 Depth=2
	s_or_b64 exec, exec, s[22:23]
	v_and_b32_e32 v2, 0xffff0000, v12
	v_and_b32_e32 v10, 0xffff0000, v16
	v_pk_mul_f32 v[2:3], v[2:3], v[10:11] op_sel_hi:[0,1]
	v_and_b32_e32 v3, 0x7f800000, v2
	v_cmp_ne_u32_e32 vcc, s72, v3
                                        ; implicit-def: $vgpr12
	s_and_saveexec_b64 s[22:23], vcc
	s_xor_b64 s[22:23], exec, s[22:23]
; %bb.262:                              ;   in Loop: Header=BB4_238 Depth=2
	v_bfe_u32 v3, v2, 16, 1
	v_add3_u32 v12, v2, v3, s73
                                        ; implicit-def: $vgpr2_vgpr3
; %bb.263:                              ;   in Loop: Header=BB4_238 Depth=2
	s_andn2_saveexec_b64 s[22:23], s[22:23]
; %bb.264:                              ;   in Loop: Header=BB4_238 Depth=2
	v_or_b32_e32 v3, 0x10000, v2
	v_cmp_eq_u32_sdwa vcc, v2, v55 src0_sel:WORD_0 src1_sel:DWORD
	s_nop 1
	v_cndmask_b32_e32 v12, v3, v2, vcc
; %bb.265:                              ;   in Loop: Header=BB4_238 Depth=2
	s_or_b64 exec, exec, s[22:23]
	v_mov_b32_e32 v3, v17
	v_lshlrev_b32_e32 v2, 16, v13
	v_lshlrev_b32_e32 v10, 16, v3
	v_pk_mul_f32 v[10:11], v[2:3], v[10:11] op_sel_hi:[0,1]
	v_and_b32_e32 v2, 0x7f800000, v10
	v_cmp_ne_u32_e32 vcc, s72, v2
                                        ; implicit-def: $vgpr16
	s_and_saveexec_b64 s[22:23], vcc
	s_xor_b64 s[22:23], exec, s[22:23]
; %bb.266:                              ;   in Loop: Header=BB4_238 Depth=2
	v_bfe_u32 v2, v10, 16, 1
	v_add3_u32 v16, v10, v2, s73
                                        ; implicit-def: $vgpr10_vgpr11
; %bb.267:                              ;   in Loop: Header=BB4_238 Depth=2
	s_andn2_saveexec_b64 s[22:23], s[22:23]
; %bb.268:                              ;   in Loop: Header=BB4_238 Depth=2
	v_or_b32_e32 v2, 0x10000, v10
	v_cmp_eq_u32_sdwa vcc, v10, v55 src0_sel:WORD_0 src1_sel:DWORD
	s_nop 1
	v_cndmask_b32_e32 v16, v2, v10, vcc
; %bb.269:                              ;   in Loop: Header=BB4_238 Depth=2
	s_or_b64 exec, exec, s[22:23]
	v_and_b32_e32 v2, 0xffff0000, v13
	v_and_b32_e32 v10, 0xffff0000, v3
	v_pk_mul_f32 v[2:3], v[2:3], v[10:11] op_sel_hi:[0,1]
	v_and_b32_e32 v3, 0x7f800000, v2
	v_cmp_ne_u32_e32 vcc, s72, v3
                                        ; implicit-def: $vgpr10
	s_and_saveexec_b64 s[22:23], vcc
	s_xor_b64 s[22:23], exec, s[22:23]
; %bb.270:                              ;   in Loop: Header=BB4_238 Depth=2
	v_bfe_u32 v3, v2, 16, 1
	v_add3_u32 v10, v2, v3, s73
                                        ; implicit-def: $vgpr2_vgpr3
; %bb.271:                              ;   in Loop: Header=BB4_238 Depth=2
	s_andn2_saveexec_b64 s[22:23], s[22:23]
; %bb.272:                              ;   in Loop: Header=BB4_238 Depth=2
	v_or_b32_e32 v3, 0x10000, v2
	v_cmp_eq_u32_sdwa vcc, v2, v55 src0_sel:WORD_0 src1_sel:DWORD
	s_nop 1
	v_cndmask_b32_e32 v10, v3, v2, vcc
; %bb.273:                              ;   in Loop: Header=BB4_238 Depth=2
	s_or_b64 exec, exec, s[22:23]
	v_lshrrev_b32_e32 v1, 16, v1
	v_lshrrev_b32_e32 v2, 16, v54
	v_and_or_b32 v58, v14, s74, v1
	v_lshrrev_b32_e32 v1, 16, v44
	v_and_or_b32 v59, v15, s74, v2
	v_and_or_b32 v60, v12, s74, v1
	v_lshrrev_b32_e32 v1, 16, v16
	v_accvgpr_read_b32 v2, a20
	v_and_or_b32 v61, v10, s74, v1
	v_accvgpr_read_b32 v3, a21
	scratch_store_dwordx4 off, v[58:61], s33 offset:96
	global_store_dwordx4 v[18:19], v[58:61], off nt
	v_lshl_add_u64 v[18:19], v[2:3], 0, v[18:19]
.LBB4_274:                              ;   in Loop: Header=BB4_238 Depth=2
	s_or_b64 exec, exec, s[20:21]
	v_sub_u32_e32 v0, v0, v30
	v_lshl_add_u64 v[20:21], v[20:21], 0, v[42:43]
	v_lshl_add_u64 v[26:27], v[26:27], 0, v[42:43]
	v_cmp_lt_i32_e64 s[60:61], 15, v0
	s_and_saveexec_b64 s[62:63], s[60:61]
	s_cbranch_execz .LBB4_277
; %bb.275:                              ;   in Loop: Header=BB4_238 Depth=2
	s_add_i32 s20, s33, 0x60
	v_mov_b32_e32 v1, s20
	s_mov_b64 s[66:67], 0
	s_mov_b64 s[64:65], -1
.LBB4_276:                              ;   Parent Loop BB4_49 Depth=1
                                        ;     Parent Loop BB4_238 Depth=2
                                        ; =>    This Inner Loop Header: Depth=3
	s_cmp_eq_u32 s66, 1
	s_cselect_b64 vcc, -1, 0
	v_cndmask_b32_e32 v3, v21, v27, vcc
	v_cndmask_b32_e32 v2, v20, v26, vcc
	global_load_dwordx4 v[10:13], v[2:3], off nt
	s_cmp_eq_u32 s66, 0
	v_lshl_add_u64 v[2:3], v[2:3], 0, s[36:37]
	s_cselect_b64 s[20:21], -1, 0
	s_and_b64 s[22:23], exec, s[64:65]
	s_mov_b64 s[66:67], 1
	s_mov_b64 s[64:65], 0
	v_cndmask_b32_e64 v21, v21, v3, s[20:21]
	v_cndmask_b32_e64 v20, v20, v2, s[20:21]
	v_cndmask_b32_e32 v27, v27, v3, vcc
	v_cndmask_b32_e32 v26, v26, v2, vcc
	s_mov_b64 vcc, s[22:23]
	s_waitcnt vmcnt(0)
	scratch_store_dwordx4 v1, v[10:13], off
	v_mov_b32_e32 v1, v40
	s_cbranch_vccnz .LBB4_276
.LBB4_277:                              ;   in Loop: Header=BB4_238 Depth=2
	s_or_b64 exec, exec, s[62:63]
	scratch_load_dwordx4 v[10:13], off, s33 offset:80
	scratch_load_dwordx4 v[14:17], off, s33 offset:64
	s_waitcnt vmcnt(1)
	v_lshlrev_b32_e32 v2, 16, v10
	s_waitcnt vmcnt(0)
	v_lshlrev_b32_e32 v54, 16, v14
	v_pk_mul_f32 v[2:3], v[2:3], v[54:55] op_sel_hi:[0,1]
	v_and_b32_e32 v1, 0x7f800000, v2
	v_cmp_ne_u32_e32 vcc, s72, v1
                                        ; implicit-def: $vgpr1
	s_and_saveexec_b64 s[20:21], vcc
	s_xor_b64 s[20:21], exec, s[20:21]
; %bb.278:                              ;   in Loop: Header=BB4_238 Depth=2
	v_bfe_u32 v1, v2, 16, 1
	v_add3_u32 v1, v2, v1, s73
                                        ; implicit-def: $vgpr2_vgpr3
; %bb.279:                              ;   in Loop: Header=BB4_238 Depth=2
	s_andn2_saveexec_b64 s[20:21], s[20:21]
; %bb.280:                              ;   in Loop: Header=BB4_238 Depth=2
	v_or_b32_e32 v1, 0x10000, v2
	v_cmp_eq_u32_sdwa vcc, v2, v55 src0_sel:WORD_0 src1_sel:DWORD
	s_nop 1
	v_cndmask_b32_e32 v1, v1, v2, vcc
; %bb.281:                              ;   in Loop: Header=BB4_238 Depth=2
	s_or_b64 exec, exec, s[20:21]
	v_and_b32_e32 v2, 0xffff0000, v10
	v_and_b32_e32 v10, 0xffff0000, v14
	v_pk_mul_f32 v[2:3], v[2:3], v[10:11] op_sel_hi:[0,1]
	v_and_b32_e32 v3, 0x7f800000, v2
	v_cmp_ne_u32_e32 vcc, s72, v3
                                        ; implicit-def: $vgpr14
	s_and_saveexec_b64 s[20:21], vcc
	s_xor_b64 s[20:21], exec, s[20:21]
; %bb.282:                              ;   in Loop: Header=BB4_238 Depth=2
	v_bfe_u32 v3, v2, 16, 1
	v_add3_u32 v14, v2, v3, s73
                                        ; implicit-def: $vgpr2_vgpr3
; %bb.283:                              ;   in Loop: Header=BB4_238 Depth=2
	s_andn2_saveexec_b64 s[20:21], s[20:21]
; %bb.284:                              ;   in Loop: Header=BB4_238 Depth=2
	v_or_b32_e32 v3, 0x10000, v2
	v_cmp_eq_u32_sdwa vcc, v2, v55 src0_sel:WORD_0 src1_sel:DWORD
	s_nop 1
	v_cndmask_b32_e32 v14, v3, v2, vcc
; %bb.285:                              ;   in Loop: Header=BB4_238 Depth=2
	s_or_b64 exec, exec, s[20:21]
	v_mov_b32_e32 v3, v11
	v_lshlrev_b32_e32 v2, 16, v3
	v_lshlrev_b32_e32 v10, 16, v15
	v_pk_mul_f32 v[10:11], v[2:3], v[10:11] op_sel_hi:[0,1]
	v_and_b32_e32 v2, 0x7f800000, v10
	v_cmp_ne_u32_e32 vcc, s72, v2
                                        ; implicit-def: $vgpr54
	s_and_saveexec_b64 s[20:21], vcc
	s_xor_b64 s[20:21], exec, s[20:21]
; %bb.286:                              ;   in Loop: Header=BB4_238 Depth=2
	v_bfe_u32 v2, v10, 16, 1
	v_add3_u32 v54, v10, v2, s73
                                        ; implicit-def: $vgpr10_vgpr11
; %bb.287:                              ;   in Loop: Header=BB4_238 Depth=2
	s_andn2_saveexec_b64 s[20:21], s[20:21]
; %bb.288:                              ;   in Loop: Header=BB4_238 Depth=2
	v_or_b32_e32 v2, 0x10000, v10
	v_cmp_eq_u32_sdwa vcc, v10, v55 src0_sel:WORD_0 src1_sel:DWORD
	s_nop 1
	v_cndmask_b32_e32 v54, v2, v10, vcc
; %bb.289:                              ;   in Loop: Header=BB4_238 Depth=2
	s_or_b64 exec, exec, s[20:21]
	v_and_b32_e32 v2, 0xffff0000, v3
	v_and_b32_e32 v10, 0xffff0000, v15
	v_pk_mul_f32 v[2:3], v[2:3], v[10:11] op_sel_hi:[0,1]
	v_and_b32_e32 v3, 0x7f800000, v2
	v_cmp_ne_u32_e32 vcc, s72, v3
                                        ; implicit-def: $vgpr15
	s_and_saveexec_b64 s[20:21], vcc
	s_xor_b64 s[20:21], exec, s[20:21]
; %bb.290:                              ;   in Loop: Header=BB4_238 Depth=2
	v_bfe_u32 v3, v2, 16, 1
	v_add3_u32 v15, v2, v3, s73
                                        ; implicit-def: $vgpr2_vgpr3
; %bb.291:                              ;   in Loop: Header=BB4_238 Depth=2
	s_andn2_saveexec_b64 s[20:21], s[20:21]
; %bb.292:                              ;   in Loop: Header=BB4_238 Depth=2
	v_or_b32_e32 v3, 0x10000, v2
	v_cmp_eq_u32_sdwa vcc, v2, v55 src0_sel:WORD_0 src1_sel:DWORD
	s_nop 1
	v_cndmask_b32_e32 v15, v3, v2, vcc
; %bb.293:                              ;   in Loop: Header=BB4_238 Depth=2
	s_or_b64 exec, exec, s[20:21]
	v_lshlrev_b32_e32 v2, 16, v12
	v_lshlrev_b32_e32 v10, 16, v16
	v_pk_mul_f32 v[2:3], v[2:3], v[10:11] op_sel_hi:[0,1]
	v_and_b32_e32 v3, 0x7f800000, v2
	v_cmp_ne_u32_e32 vcc, s72, v3
                                        ; implicit-def: $vgpr44
	s_and_saveexec_b64 s[20:21], vcc
	s_xor_b64 s[20:21], exec, s[20:21]
; %bb.294:                              ;   in Loop: Header=BB4_238 Depth=2
	v_bfe_u32 v3, v2, 16, 1
	v_add3_u32 v44, v2, v3, s73
                                        ; implicit-def: $vgpr2_vgpr3
; %bb.295:                              ;   in Loop: Header=BB4_238 Depth=2
	s_andn2_saveexec_b64 s[20:21], s[20:21]
; %bb.296:                              ;   in Loop: Header=BB4_238 Depth=2
	v_or_b32_e32 v3, 0x10000, v2
	v_cmp_eq_u32_sdwa vcc, v2, v55 src0_sel:WORD_0 src1_sel:DWORD
	s_nop 1
	v_cndmask_b32_e32 v44, v3, v2, vcc
; %bb.297:                              ;   in Loop: Header=BB4_238 Depth=2
	s_or_b64 exec, exec, s[20:21]
	v_and_b32_e32 v2, 0xffff0000, v12
	v_and_b32_e32 v10, 0xffff0000, v16
	v_pk_mul_f32 v[2:3], v[2:3], v[10:11] op_sel_hi:[0,1]
	v_and_b32_e32 v3, 0x7f800000, v2
	v_cmp_ne_u32_e32 vcc, s72, v3
                                        ; implicit-def: $vgpr12
	s_and_saveexec_b64 s[20:21], vcc
	s_xor_b64 s[20:21], exec, s[20:21]
; %bb.298:                              ;   in Loop: Header=BB4_238 Depth=2
	v_bfe_u32 v3, v2, 16, 1
	v_add3_u32 v12, v2, v3, s73
                                        ; implicit-def: $vgpr2_vgpr3
; %bb.299:                              ;   in Loop: Header=BB4_238 Depth=2
	s_andn2_saveexec_b64 s[20:21], s[20:21]
; %bb.300:                              ;   in Loop: Header=BB4_238 Depth=2
	v_or_b32_e32 v3, 0x10000, v2
	v_cmp_eq_u32_sdwa vcc, v2, v55 src0_sel:WORD_0 src1_sel:DWORD
	s_nop 1
	v_cndmask_b32_e32 v12, v3, v2, vcc
; %bb.301:                              ;   in Loop: Header=BB4_238 Depth=2
	s_or_b64 exec, exec, s[20:21]
	v_mov_b32_e32 v3, v17
	v_lshlrev_b32_e32 v2, 16, v13
	v_lshlrev_b32_e32 v10, 16, v3
	v_pk_mul_f32 v[10:11], v[2:3], v[10:11] op_sel_hi:[0,1]
	v_and_b32_e32 v2, 0x7f800000, v10
	v_cmp_ne_u32_e32 vcc, s72, v2
                                        ; implicit-def: $vgpr16
	s_and_saveexec_b64 s[20:21], vcc
	s_xor_b64 s[20:21], exec, s[20:21]
; %bb.302:                              ;   in Loop: Header=BB4_238 Depth=2
	v_bfe_u32 v2, v10, 16, 1
	v_add3_u32 v16, v10, v2, s73
                                        ; implicit-def: $vgpr10_vgpr11
; %bb.303:                              ;   in Loop: Header=BB4_238 Depth=2
	s_andn2_saveexec_b64 s[20:21], s[20:21]
; %bb.304:                              ;   in Loop: Header=BB4_238 Depth=2
	v_or_b32_e32 v2, 0x10000, v10
	v_cmp_eq_u32_sdwa vcc, v10, v55 src0_sel:WORD_0 src1_sel:DWORD
	s_nop 1
	v_cndmask_b32_e32 v16, v2, v10, vcc
; %bb.305:                              ;   in Loop: Header=BB4_238 Depth=2
	s_or_b64 exec, exec, s[20:21]
	v_and_b32_e32 v2, 0xffff0000, v13
	v_and_b32_e32 v10, 0xffff0000, v3
	v_pk_mul_f32 v[2:3], v[2:3], v[10:11] op_sel_hi:[0,1]
	v_and_b32_e32 v3, 0x7f800000, v2
	v_cmp_ne_u32_e32 vcc, s72, v3
                                        ; implicit-def: $vgpr10
	s_and_saveexec_b64 s[20:21], vcc
	s_xor_b64 s[20:21], exec, s[20:21]
; %bb.306:                              ;   in Loop: Header=BB4_238 Depth=2
	v_bfe_u32 v3, v2, 16, 1
	v_add3_u32 v10, v2, v3, s73
                                        ; implicit-def: $vgpr2_vgpr3
; %bb.307:                              ;   in Loop: Header=BB4_238 Depth=2
	s_andn2_saveexec_b64 s[20:21], s[20:21]
; %bb.308:                              ;   in Loop: Header=BB4_238 Depth=2
	v_or_b32_e32 v3, 0x10000, v2
	v_cmp_eq_u32_sdwa vcc, v2, v55 src0_sel:WORD_0 src1_sel:DWORD
	s_nop 1
	v_cndmask_b32_e32 v10, v3, v2, vcc
; %bb.309:                              ;   in Loop: Header=BB4_238 Depth=2
	s_or_b64 exec, exec, s[20:21]
	v_lshrrev_b32_e32 v1, 16, v1
	v_and_or_b32 v58, v14, s74, v1
	v_lshrrev_b32_e32 v1, 16, v44
	v_lshrrev_b32_e32 v2, 16, v54
	v_and_or_b32 v60, v12, s74, v1
	v_lshrrev_b32_e32 v1, 16, v16
	v_and_or_b32 v59, v15, s74, v2
	v_and_or_b32 v61, v10, s74, v1
	v_sub_u32_e32 v28, v28, v24
	scratch_store_dwordx4 off, v[58:61], s33 offset:64
	global_store_dwordx4 v[18:19], v[58:61], off nt
	v_lshl_add_u64 v[18:19], v[18:19], 0, s[36:37]
	s_and_saveexec_b64 s[20:21], s[60:61]
	s_cbranch_execz .LBB4_237
; %bb.310:                              ;   in Loop: Header=BB4_238 Depth=2
	v_lshl_add_u64 v[20:21], v[20:21], 0, v[42:43]
	v_lshl_add_u64 v[26:27], v[26:27], 0, v[42:43]
	;; [unrolled: 1-line block ×3, first 2 shown]
	v_sub_u32_e32 v0, v0, v30
	v_sub_u32_e32 v28, v28, v24
	s_branch .LBB4_237
.LBB4_311:                              ;   in Loop: Header=BB4_49 Depth=1
	s_or_b64 exec, exec, s[56:57]
	s_and_b64 s[22:23], s[58:59], exec
	v_mov_b32_e32 v21, v45
.LBB4_312:                              ;   in Loop: Header=BB4_49 Depth=1
	s_or_b64 exec, exec, s[54:55]
	s_and_saveexec_b64 s[20:21], s[22:23]
	s_cbranch_execz .LBB4_346
; %bb.313:                              ;   in Loop: Header=BB4_49 Depth=1
	scratch_load_dwordx4 v[10:13], off, s33 offset:112
	scratch_load_dwordx4 v[14:17], off, s33 offset:96
	s_waitcnt vmcnt(0)
	v_lshlrev_b32_e32 v0, 16, v10
	v_lshlrev_b32_e32 v2, 16, v14
	v_pk_mul_f32 v[2:3], v[0:1], v[2:3] op_sel_hi:[0,1]
	v_and_b32_e32 v0, 0x7f800000, v2
	v_cmp_ne_u32_e32 vcc, s72, v0
                                        ; implicit-def: $vgpr0
	s_and_saveexec_b64 s[22:23], vcc
	s_xor_b64 s[22:23], exec, s[22:23]
; %bb.314:                              ;   in Loop: Header=BB4_49 Depth=1
	v_bfe_u32 v0, v2, 16, 1
	v_add3_u32 v0, v2, v0, s73
                                        ; implicit-def: $vgpr2_vgpr3
; %bb.315:                              ;   in Loop: Header=BB4_49 Depth=1
	s_andn2_saveexec_b64 s[22:23], s[22:23]
; %bb.316:                              ;   in Loop: Header=BB4_49 Depth=1
	v_or_b32_e32 v0, 0x10000, v2
	v_cmp_eq_u32_sdwa vcc, v2, v55 src0_sel:WORD_0 src1_sel:DWORD
	s_nop 1
	v_cndmask_b32_e32 v0, v0, v2, vcc
; %bb.317:                              ;   in Loop: Header=BB4_49 Depth=1
	s_or_b64 exec, exec, s[22:23]
	v_and_b32_e32 v2, 0xffff0000, v10
	v_and_b32_e32 v10, 0xffff0000, v14
	v_pk_mul_f32 v[2:3], v[2:3], v[10:11] op_sel_hi:[0,1]
	v_and_b32_e32 v1, 0x7f800000, v2
	v_cmp_ne_u32_e32 vcc, s72, v1
                                        ; implicit-def: $vgpr1
	s_and_saveexec_b64 s[22:23], vcc
	s_xor_b64 s[22:23], exec, s[22:23]
; %bb.318:                              ;   in Loop: Header=BB4_49 Depth=1
	v_bfe_u32 v1, v2, 16, 1
	v_add3_u32 v1, v2, v1, s73
                                        ; implicit-def: $vgpr2_vgpr3
; %bb.319:                              ;   in Loop: Header=BB4_49 Depth=1
	s_andn2_saveexec_b64 s[22:23], s[22:23]
; %bb.320:                              ;   in Loop: Header=BB4_49 Depth=1
	v_or_b32_e32 v1, 0x10000, v2
	v_cmp_eq_u32_sdwa vcc, v2, v55 src0_sel:WORD_0 src1_sel:DWORD
	s_nop 1
	v_cndmask_b32_e32 v1, v1, v2, vcc
; %bb.321:                              ;   in Loop: Header=BB4_49 Depth=1
	s_or_b64 exec, exec, s[22:23]
	v_mov_b32_e32 v3, v11
	v_lshlrev_b32_e32 v2, 16, v3
	v_lshlrev_b32_e32 v10, 16, v15
	v_pk_mul_f32 v[10:11], v[2:3], v[10:11] op_sel_hi:[0,1]
	v_and_b32_e32 v2, 0x7f800000, v10
	v_cmp_ne_u32_e32 vcc, s72, v2
                                        ; implicit-def: $vgpr14
	s_and_saveexec_b64 s[22:23], vcc
	s_xor_b64 s[22:23], exec, s[22:23]
; %bb.322:                              ;   in Loop: Header=BB4_49 Depth=1
	v_bfe_u32 v2, v10, 16, 1
	v_add3_u32 v14, v10, v2, s73
                                        ; implicit-def: $vgpr10_vgpr11
; %bb.323:                              ;   in Loop: Header=BB4_49 Depth=1
	s_andn2_saveexec_b64 s[22:23], s[22:23]
; %bb.324:                              ;   in Loop: Header=BB4_49 Depth=1
	v_or_b32_e32 v2, 0x10000, v10
	v_cmp_eq_u32_sdwa vcc, v10, v55 src0_sel:WORD_0 src1_sel:DWORD
	s_nop 1
	v_cndmask_b32_e32 v14, v2, v10, vcc
; %bb.325:                              ;   in Loop: Header=BB4_49 Depth=1
	s_or_b64 exec, exec, s[22:23]
	v_and_b32_e32 v2, 0xffff0000, v3
	v_and_b32_e32 v10, 0xffff0000, v15
	v_pk_mul_f32 v[2:3], v[2:3], v[10:11] op_sel_hi:[0,1]
	v_and_b32_e32 v3, 0x7f800000, v2
	v_cmp_ne_u32_e32 vcc, s72, v3
                                        ; implicit-def: $vgpr15
	s_and_saveexec_b64 s[22:23], vcc
	s_xor_b64 s[22:23], exec, s[22:23]
; %bb.326:                              ;   in Loop: Header=BB4_49 Depth=1
	v_bfe_u32 v3, v2, 16, 1
	v_add3_u32 v15, v2, v3, s73
                                        ; implicit-def: $vgpr2_vgpr3
; %bb.327:                              ;   in Loop: Header=BB4_49 Depth=1
	s_andn2_saveexec_b64 s[22:23], s[22:23]
; %bb.328:                              ;   in Loop: Header=BB4_49 Depth=1
	v_or_b32_e32 v3, 0x10000, v2
	v_cmp_eq_u32_sdwa vcc, v2, v55 src0_sel:WORD_0 src1_sel:DWORD
	s_nop 1
	v_cndmask_b32_e32 v15, v3, v2, vcc
; %bb.329:                              ;   in Loop: Header=BB4_49 Depth=1
	s_or_b64 exec, exec, s[22:23]
	v_lshlrev_b32_e32 v2, 16, v12
	v_lshlrev_b32_e32 v10, 16, v16
	v_pk_mul_f32 v[2:3], v[2:3], v[10:11] op_sel_hi:[0,1]
	v_and_b32_e32 v3, 0x7f800000, v2
	v_cmp_ne_u32_e32 vcc, s72, v3
                                        ; implicit-def: $vgpr20
	s_and_saveexec_b64 s[22:23], vcc
	s_xor_b64 s[22:23], exec, s[22:23]
; %bb.330:                              ;   in Loop: Header=BB4_49 Depth=1
	v_bfe_u32 v3, v2, 16, 1
	v_add3_u32 v20, v2, v3, s73
                                        ; implicit-def: $vgpr2_vgpr3
; %bb.331:                              ;   in Loop: Header=BB4_49 Depth=1
	s_andn2_saveexec_b64 s[22:23], s[22:23]
; %bb.332:                              ;   in Loop: Header=BB4_49 Depth=1
	v_or_b32_e32 v3, 0x10000, v2
	v_cmp_eq_u32_sdwa vcc, v2, v55 src0_sel:WORD_0 src1_sel:DWORD
	s_nop 1
	v_cndmask_b32_e32 v20, v3, v2, vcc
; %bb.333:                              ;   in Loop: Header=BB4_49 Depth=1
	s_or_b64 exec, exec, s[22:23]
	v_and_b32_e32 v2, 0xffff0000, v12
	v_and_b32_e32 v10, 0xffff0000, v16
	v_pk_mul_f32 v[2:3], v[2:3], v[10:11] op_sel_hi:[0,1]
	v_and_b32_e32 v3, 0x7f800000, v2
	v_cmp_ne_u32_e32 vcc, s72, v3
                                        ; implicit-def: $vgpr12
	s_and_saveexec_b64 s[22:23], vcc
	s_xor_b64 s[22:23], exec, s[22:23]
; %bb.334:                              ;   in Loop: Header=BB4_49 Depth=1
	v_bfe_u32 v3, v2, 16, 1
	v_add3_u32 v12, v2, v3, s73
                                        ; implicit-def: $vgpr2_vgpr3
; %bb.335:                              ;   in Loop: Header=BB4_49 Depth=1
	s_andn2_saveexec_b64 s[22:23], s[22:23]
; %bb.336:                              ;   in Loop: Header=BB4_49 Depth=1
	v_or_b32_e32 v3, 0x10000, v2
	v_cmp_eq_u32_sdwa vcc, v2, v55 src0_sel:WORD_0 src1_sel:DWORD
	s_nop 1
	v_cndmask_b32_e32 v12, v3, v2, vcc
; %bb.337:                              ;   in Loop: Header=BB4_49 Depth=1
	s_or_b64 exec, exec, s[22:23]
	v_mov_b32_e32 v3, v17
	v_lshlrev_b32_e32 v2, 16, v13
	v_lshlrev_b32_e32 v10, 16, v3
	v_pk_mul_f32 v[10:11], v[2:3], v[10:11] op_sel_hi:[0,1]
	v_and_b32_e32 v2, 0x7f800000, v10
	v_cmp_ne_u32_e32 vcc, s72, v2
                                        ; implicit-def: $vgpr16
	s_and_saveexec_b64 s[22:23], vcc
	s_xor_b64 s[22:23], exec, s[22:23]
; %bb.338:                              ;   in Loop: Header=BB4_49 Depth=1
	v_bfe_u32 v2, v10, 16, 1
	v_add3_u32 v16, v10, v2, s73
                                        ; implicit-def: $vgpr10_vgpr11
; %bb.339:                              ;   in Loop: Header=BB4_49 Depth=1
	s_andn2_saveexec_b64 s[22:23], s[22:23]
; %bb.340:                              ;   in Loop: Header=BB4_49 Depth=1
	v_or_b32_e32 v2, 0x10000, v10
	v_cmp_eq_u32_sdwa vcc, v10, v55 src0_sel:WORD_0 src1_sel:DWORD
	s_nop 1
	v_cndmask_b32_e32 v16, v2, v10, vcc
; %bb.341:                              ;   in Loop: Header=BB4_49 Depth=1
	s_or_b64 exec, exec, s[22:23]
	v_and_b32_e32 v2, 0xffff0000, v13
	v_and_b32_e32 v10, 0xffff0000, v3
	v_pk_mul_f32 v[2:3], v[2:3], v[10:11] op_sel_hi:[0,1]
	v_and_b32_e32 v3, 0x7f800000, v2
	v_cmp_ne_u32_e32 vcc, s72, v3
                                        ; implicit-def: $vgpr10
	s_and_saveexec_b64 s[22:23], vcc
	s_xor_b64 s[22:23], exec, s[22:23]
; %bb.342:                              ;   in Loop: Header=BB4_49 Depth=1
	v_bfe_u32 v3, v2, 16, 1
	v_add3_u32 v10, v2, v3, s73
                                        ; implicit-def: $vgpr2_vgpr3
; %bb.343:                              ;   in Loop: Header=BB4_49 Depth=1
	s_andn2_saveexec_b64 s[22:23], s[22:23]
; %bb.344:                              ;   in Loop: Header=BB4_49 Depth=1
	v_or_b32_e32 v3, 0x10000, v2
	v_cmp_eq_u32_sdwa vcc, v2, v55 src0_sel:WORD_0 src1_sel:DWORD
	s_nop 1
	v_cndmask_b32_e32 v10, v3, v2, vcc
; %bb.345:                              ;   in Loop: Header=BB4_49 Depth=1
	s_or_b64 exec, exec, s[22:23]
	v_lshrrev_b32_e32 v0, 16, v0
	v_and_or_b32 v44, v1, s74, v0
	v_lshrrev_b32_e32 v0, 16, v20
	v_lshrrev_b32_e32 v2, 16, v14
	v_and_or_b32 v46, v12, s74, v0
	v_lshrrev_b32_e32 v0, 16, v16
	v_and_or_b32 v45, v15, s74, v2
	v_and_or_b32 v47, v10, s74, v0
	global_store_dwordx4 v[18:19], v[44:47], off nt
.LBB4_346:                              ;   in Loop: Header=BB4_49 Depth=1
	s_or_b64 exec, exec, s[20:21]
	v_and_b32_e32 v3, 14, v29
	v_cndmask_b32_e64 v54, v53, v3, s[18:19]
	v_cmp_ne_u32_e32 vcc, 0, v54
	s_mov_b64 s[20:21], s[50:51]
                                        ; implicit-def: $vgpr0
                                        ; implicit-def: $vgpr2
                                        ; implicit-def: $vgpr1
	s_and_saveexec_b64 s[22:23], vcc
	s_cbranch_execz .LBB4_348
; %bb.347:                              ;   in Loop: Header=BB4_49 Depth=1
	v_cmp_lt_i32_e32 vcc, 0, v28
	v_sub_u32_e32 v0, v53, v3
	v_cndmask_b32_e64 v0, 0, v0, s[18:19]
	v_cndmask_b32_e32 v1, 0, v24, vcc
	v_sub_u32_e32 v1, v1, v28
	v_lshl_add_u32 v2, v1, 6, v52
	v_ashrrev_i32_e32 v1, 31, v2
	v_lshrrev_b32_e32 v1, 26, v1
	v_add_u32_e32 v1, v2, v1
	v_and_b32_e32 v1, 0xffffffc0, v1
	v_add3_u32 v0, v23, v21, v0
	v_sub_u32_e32 v1, v2, v1
	s_or_b64 s[20:21], s[50:51], exec
.LBB4_348:                              ;   in Loop: Header=BB4_49 Depth=1
	s_or_b64 exec, exec, s[22:23]
	s_andn2_b64 s[18:19], s[50:51], exec
	s_and_b64 s[20:21], s[20:21], exec
	s_or_b64 s[50:51], s[18:19], s[20:21]
.LBB4_349:                              ;   in Loop: Header=BB4_49 Depth=1
	s_or_b64 exec, exec, s[52:53]
	s_and_saveexec_b64 s[22:23], s[50:51]
	s_cbranch_execz .LBB4_434
.LBB4_350:                              ;   in Loop: Header=BB4_49 Depth=1
	v_ashrrev_i32_e32 v3, 31, v2
	v_lshrrev_b32_e32 v3, 26, v3
	v_add_u32_e32 v2, v2, v3
	v_ashrrev_i32_e32 v2, 6, v2
	v_lshlrev_b32_e32 v3, 9, v2
	v_lshlrev_b32_e32 v10, 1, v1
	v_add3_u32 v12, v0, v10, v3
	v_ashrrev_i32_e32 v3, 31, v54
	v_lshrrev_b32_e32 v3, 23, v3
	v_add_u32_e32 v3, v54, v3
	v_ashrrev_i32_e32 v47, 9, v3
	v_sub_u32_e32 v14, v47, v2
	s_waitcnt lgkmcnt(0)
	v_accvgpr_read_b32 v2, a30
	v_ashrrev_i32_e32 v13, 31, v12
	v_accvgpr_read_b32 v3, a31
	v_lshl_add_u64 v[2:3], v[2:3], 0, v[12:13]
	v_cmp_lt_i32_e32 vcc, 0, v14
	s_mov_b64 s[20:21], 0
	v_mov_b32_e32 v27, 0
	v_mov_b32_e32 v17, 0
	;; [unrolled: 1-line block ×8, first 2 shown]
	s_and_saveexec_b64 s[18:19], vcc
	s_cbranch_execz .LBB4_390
; %bb.351:                              ;   in Loop: Header=BB4_49 Depth=1
	s_trap 2
	ds_read_b128 v[16:19], v0
	s_mov_b64 s[52:53], 0
	s_mov_b64 s[50:51], 0
                                        ; implicit-def: $sgpr20_sgpr21
                                        ; implicit-def: $vgpr52
                                        ; implicit-def: $vgpr26
                                        ; implicit-def: $vgpr23
                                        ; implicit-def: $vgpr21
                                        ; implicit-def: $vgpr20
	s_waitcnt lgkmcnt(0)
	v_lshl_add_u64 v[10:11], v[16:17], 0, v[12:13]
	v_lshl_add_u64 v[12:13], v[18:19], 0, v[12:13]
                                        ; implicit-def: $vgpr17
                                        ; implicit-def: $vgpr18
                                        ; implicit-def: $vgpr19
	s_branch .LBB4_353
.LBB4_352:                              ;   in Loop: Header=BB4_353 Depth=2
	s_or_b64 exec, exec, s[54:55]
	flat_store_short_d16_hi v[2:3], v45 nt
	flat_store_short_d16_hi v[2:3], v16 offset:128 nt
	flat_store_short_d16_hi v[2:3], v29 offset:256 nt
	;; [unrolled: 1-line block ×3, first 2 shown]
	v_accvgpr_read_b32 v29, a23
	v_accvgpr_read_b32 v28, a22
	v_lshl_add_u64 v[14:15], v[10:11], 0, v[28:29]
	v_cndmask_b32_e64 v10, v10, v14, s[52:53]
	v_cndmask_b32_e64 v14, 0, v24, s[52:53]
	v_sub_u32_e32 v14, v46, v14
	v_cmp_gt_i32_e32 vcc, 1, v14
	v_mov_b32_e32 v16, 0x200
	s_or_b64 s[50:51], vcc, s[50:51]
	v_lshl_add_u64 v[28:29], v[12:13], 0, v[28:29]
	v_cndmask_b32_e64 v45, 0, v57, s[52:53]
	v_cndmask_b32_e64 v44, v16, v56, s[52:53]
	s_andn2_b64 s[20:21], s[20:21], exec
	s_and_b64 vcc, s[52:53], exec
	v_lshl_add_u64 v[2:3], v[2:3], 0, v[44:45]
	v_cndmask_b32_e64 v11, v11, v15, s[52:53]
	v_cndmask_b32_e64 v13, v13, v29, s[52:53]
	;; [unrolled: 1-line block ×3, first 2 shown]
	s_or_b64 s[20:21], s[20:21], vcc
	s_andn2_b64 exec, exec, s[50:51]
	s_cbranch_execz .LBB4_389
.LBB4_353:                              ;   Parent Loop BB4_49 Depth=1
                                        ; =>  This Inner Loop Header: Depth=2
	flat_load_ushort v15, v[10:11] nt
	flat_load_ushort v16, v[10:11] offset:128 nt
	flat_load_ushort v29, v[10:11] offset:256 nt
	;; [unrolled: 1-line block ×3, first 2 shown]
	flat_load_ushort v45, v[12:13] nt
	flat_load_ushort v44, v[12:13] offset:128 nt
	flat_load_ushort v53, v[12:13] offset:256 nt
	;; [unrolled: 1-line block ×3, first 2 shown]
	s_and_saveexec_b64 s[54:55], s[52:53]
	s_cbranch_execz .LBB4_371
; %bb.354:                              ;   in Loop: Header=BB4_353 Depth=2
	v_lshlrev_b32_e32 v52, 16, v52
	v_lshlrev_b32_e32 v46, 16, v17
	v_mul_f32_e32 v46, v52, v46
	v_and_b32_e32 v52, 0x7f800000, v46
	v_cmp_ne_u32_e32 vcc, s72, v52
                                        ; implicit-def: $vgpr52
	s_and_saveexec_b64 s[52:53], vcc
	s_xor_b64 vcc, exec, s[52:53]
; %bb.355:                              ;   in Loop: Header=BB4_353 Depth=2
	v_bfe_u32 v52, v46, 16, 1
	v_add3_u32 v52, v46, v52, s73
                                        ; implicit-def: $vgpr46
; %bb.356:                              ;   in Loop: Header=BB4_353 Depth=2
	s_andn2_saveexec_b64 s[52:53], vcc
; %bb.357:                              ;   in Loop: Header=BB4_353 Depth=2
	v_or_b32_e32 v52, 0x10000, v46
	v_cmp_eq_u32_sdwa vcc, v46, v55 src0_sel:WORD_0 src1_sel:DWORD
	s_nop 1
	v_cndmask_b32_e32 v52, v52, v46, vcc
; %bb.358:                              ;   in Loop: Header=BB4_353 Depth=2
	s_or_b64 exec, exec, s[52:53]
	v_lshlrev_b32_e32 v26, 16, v26
	v_lshlrev_b32_e32 v46, 16, v18
	v_mul_f32_e32 v46, v26, v46
	v_and_b32_e32 v26, 0x7f800000, v46
	v_cmp_ne_u32_e32 vcc, s72, v26
                                        ; implicit-def: $vgpr26
	s_and_saveexec_b64 s[52:53], vcc
	s_xor_b64 vcc, exec, s[52:53]
; %bb.359:                              ;   in Loop: Header=BB4_353 Depth=2
	v_bfe_u32 v26, v46, 16, 1
	v_add3_u32 v26, v46, v26, s73
                                        ; implicit-def: $vgpr46
; %bb.360:                              ;   in Loop: Header=BB4_353 Depth=2
	s_andn2_saveexec_b64 s[52:53], vcc
; %bb.361:                              ;   in Loop: Header=BB4_353 Depth=2
	v_or_b32_e32 v26, 0x10000, v46
	v_cmp_eq_u32_sdwa vcc, v46, v55 src0_sel:WORD_0 src1_sel:DWORD
	s_nop 1
	v_cndmask_b32_e32 v26, v26, v46, vcc
; %bb.362:                              ;   in Loop: Header=BB4_353 Depth=2
	s_or_b64 exec, exec, s[52:53]
	v_lshlrev_b32_e32 v23, 16, v23
	v_lshlrev_b32_e32 v46, 16, v19
	v_mul_f32_e32 v46, v23, v46
	v_and_b32_e32 v23, 0x7f800000, v46
	v_cmp_ne_u32_e32 vcc, s72, v23
                                        ; implicit-def: $vgpr23
	s_and_saveexec_b64 s[52:53], vcc
	s_xor_b64 vcc, exec, s[52:53]
; %bb.363:                              ;   in Loop: Header=BB4_353 Depth=2
	v_bfe_u32 v23, v46, 16, 1
	v_add3_u32 v23, v46, v23, s73
                                        ; implicit-def: $vgpr46
; %bb.364:                              ;   in Loop: Header=BB4_353 Depth=2
	s_andn2_saveexec_b64 s[52:53], vcc
; %bb.365:                              ;   in Loop: Header=BB4_353 Depth=2
	v_or_b32_e32 v23, 0x10000, v46
	v_cmp_eq_u32_sdwa vcc, v46, v55 src0_sel:WORD_0 src1_sel:DWORD
	s_nop 1
	v_cndmask_b32_e32 v23, v23, v46, vcc
; %bb.366:                              ;   in Loop: Header=BB4_353 Depth=2
	s_or_b64 exec, exec, s[52:53]
	v_lshlrev_b32_e32 v21, 16, v21
	v_lshlrev_b32_e32 v46, 16, v20
	v_mul_f32_e32 v46, v21, v46
	v_and_b32_e32 v21, 0x7f800000, v46
	v_cmp_ne_u32_e32 vcc, s72, v21
                                        ; implicit-def: $vgpr21
	s_and_saveexec_b64 s[52:53], vcc
	s_xor_b64 vcc, exec, s[52:53]
; %bb.367:                              ;   in Loop: Header=BB4_353 Depth=2
	v_bfe_u32 v21, v46, 16, 1
	v_add3_u32 v21, v46, v21, s73
                                        ; implicit-def: $vgpr46
; %bb.368:                              ;   in Loop: Header=BB4_353 Depth=2
	s_andn2_saveexec_b64 s[52:53], vcc
; %bb.369:                              ;   in Loop: Header=BB4_353 Depth=2
	v_or_b32_e32 v21, 0x10000, v46
	v_cmp_eq_u32_sdwa vcc, v46, v55 src0_sel:WORD_0 src1_sel:DWORD
	s_nop 1
	v_cndmask_b32_e32 v21, v21, v46, vcc
; %bb.370:                              ;   in Loop: Header=BB4_353 Depth=2
	s_or_b64 exec, exec, s[52:53]
	v_lshrrev_b32_e32 v52, 16, v52
	v_lshrrev_b32_e32 v23, 16, v23
	v_lshrrev_b32_e32 v26, 16, v26
	v_lshrrev_b32_e32 v21, 16, v21
	flat_store_short v[2:3], v52 nt
	flat_store_short v[2:3], v26 offset:128 nt
	flat_store_short v[2:3], v23 offset:256 nt
	;; [unrolled: 1-line block ×3, first 2 shown]
	v_lshl_add_u64 v[2:3], v[2:3], 0, v[56:57]
.LBB4_371:                              ;   in Loop: Header=BB4_353 Depth=2
	s_or_b64 exec, exec, s[54:55]
	v_sub_u32_e32 v46, v14, v24
	v_lshl_add_u64 v[10:11], v[10:11], 0, v[56:57]
	v_lshl_add_u64 v[12:13], v[12:13], 0, v[56:57]
	v_cmp_lt_i32_e64 s[52:53], 0, v46
	s_and_saveexec_b64 vcc, s[52:53]
	s_cbranch_execz .LBB4_373
; %bb.372:                              ;   in Loop: Header=BB4_353 Depth=2
	flat_load_ushort v52, v[10:11] nt
	flat_load_ushort v26, v[10:11] offset:128 nt
	flat_load_ushort v23, v[10:11] offset:256 nt
	;; [unrolled: 1-line block ×3, first 2 shown]
	flat_load_ushort v17, v[12:13] nt
	flat_load_ushort v18, v[12:13] offset:128 nt
	flat_load_ushort v19, v[12:13] offset:256 nt
	;; [unrolled: 1-line block ×3, first 2 shown]
	v_lshl_add_u64 v[10:11], v[10:11], 0, s[38:39]
	v_lshl_add_u64 v[12:13], v[12:13], 0, s[38:39]
.LBB4_373:                              ;   in Loop: Header=BB4_353 Depth=2
	s_or_b64 exec, exec, vcc
	s_waitcnt vmcnt(0) lgkmcnt(0)
	v_lshlrev_b32_e32 v14, 16, v45
	v_lshlrev_b32_e32 v58, 16, v15
	v_pk_mul_f32 v[14:15], v[14:15], v[58:59] op_sel_hi:[0,1]
	v_and_b32_e32 v15, 0x7f800000, v14
	v_cmp_ne_u32_e32 vcc, s72, v15
                                        ; implicit-def: $vgpr45
	s_and_saveexec_b64 s[54:55], vcc
	s_xor_b64 vcc, exec, s[54:55]
; %bb.374:                              ;   in Loop: Header=BB4_353 Depth=2
	v_bfe_u32 v15, v14, 16, 1
	v_add3_u32 v45, v14, v15, s73
                                        ; implicit-def: $vgpr14_vgpr15
; %bb.375:                              ;   in Loop: Header=BB4_353 Depth=2
	s_andn2_saveexec_b64 s[54:55], vcc
; %bb.376:                              ;   in Loop: Header=BB4_353 Depth=2
	v_or_b32_e32 v15, 0x10000, v14
	v_cmp_eq_u32_sdwa vcc, v14, v55 src0_sel:WORD_0 src1_sel:DWORD
	s_nop 1
	v_cndmask_b32_e32 v45, v15, v14, vcc
; %bb.377:                              ;   in Loop: Header=BB4_353 Depth=2
	s_or_b64 exec, exec, s[54:55]
	v_lshlrev_b32_e32 v14, 16, v44
	v_lshlrev_b32_e32 v16, 16, v16
	v_pk_mul_f32 v[14:15], v[14:15], v[16:17] op_sel_hi:[0,1]
	v_and_b32_e32 v15, 0x7f800000, v14
	v_cmp_ne_u32_e32 vcc, s72, v15
                                        ; implicit-def: $vgpr16
	s_and_saveexec_b64 s[54:55], vcc
	s_xor_b64 vcc, exec, s[54:55]
; %bb.378:                              ;   in Loop: Header=BB4_353 Depth=2
	v_bfe_u32 v15, v14, 16, 1
	v_add3_u32 v16, v14, v15, s73
                                        ; implicit-def: $vgpr14_vgpr15
; %bb.379:                              ;   in Loop: Header=BB4_353 Depth=2
	s_andn2_saveexec_b64 s[54:55], vcc
; %bb.380:                              ;   in Loop: Header=BB4_353 Depth=2
	v_or_b32_e32 v15, 0x10000, v14
	v_cmp_eq_u32_sdwa vcc, v14, v55 src0_sel:WORD_0 src1_sel:DWORD
	s_nop 1
	v_cndmask_b32_e32 v16, v15, v14, vcc
; %bb.381:                              ;   in Loop: Header=BB4_353 Depth=2
	s_or_b64 exec, exec, s[54:55]
	v_lshlrev_b32_e32 v14, 16, v53
	v_lshlrev_b32_e32 v44, 16, v29
	v_pk_mul_f32 v[14:15], v[14:15], v[44:45] op_sel_hi:[0,1]
	v_and_b32_e32 v15, 0x7f800000, v14
	v_cmp_ne_u32_e32 vcc, s72, v15
                                        ; implicit-def: $vgpr29
	s_and_saveexec_b64 s[54:55], vcc
	s_xor_b64 vcc, exec, s[54:55]
; %bb.382:                              ;   in Loop: Header=BB4_353 Depth=2
	v_bfe_u32 v15, v14, 16, 1
	v_add3_u32 v29, v14, v15, s73
                                        ; implicit-def: $vgpr14_vgpr15
; %bb.383:                              ;   in Loop: Header=BB4_353 Depth=2
	s_andn2_saveexec_b64 s[54:55], vcc
; %bb.384:                              ;   in Loop: Header=BB4_353 Depth=2
	v_or_b32_e32 v15, 0x10000, v14
	v_cmp_eq_u32_sdwa vcc, v14, v55 src0_sel:WORD_0 src1_sel:DWORD
	s_nop 1
	v_cndmask_b32_e32 v29, v15, v14, vcc
; %bb.385:                              ;   in Loop: Header=BB4_353 Depth=2
	s_or_b64 exec, exec, s[54:55]
	v_lshlrev_b32_e32 v14, 16, v28
	v_lshlrev_b32_e32 v28, 16, v27
	v_pk_mul_f32 v[14:15], v[14:15], v[28:29] op_sel_hi:[0,1]
	v_and_b32_e32 v15, 0x7f800000, v14
	v_cmp_ne_u32_e32 vcc, s72, v15
                                        ; implicit-def: $vgpr27
	s_and_saveexec_b64 s[54:55], vcc
	s_xor_b64 vcc, exec, s[54:55]
; %bb.386:                              ;   in Loop: Header=BB4_353 Depth=2
	v_bfe_u32 v15, v14, 16, 1
	v_add3_u32 v27, v14, v15, s73
                                        ; implicit-def: $vgpr14_vgpr15
; %bb.387:                              ;   in Loop: Header=BB4_353 Depth=2
	s_andn2_saveexec_b64 s[54:55], vcc
	s_cbranch_execz .LBB4_352
; %bb.388:                              ;   in Loop: Header=BB4_353 Depth=2
	v_or_b32_e32 v15, 0x10000, v14
	v_cmp_eq_u32_sdwa vcc, v14, v55 src0_sel:WORD_0 src1_sel:DWORD
	s_nop 1
	v_cndmask_b32_e32 v27, v15, v14, vcc
	s_branch .LBB4_352
.LBB4_389:                              ;   in Loop: Header=BB4_49 Depth=1
	s_or_b64 exec, exec, s[50:51]
	v_lshlrev_b32_e32 v27, 16, v52
	v_lshlrev_b32_e32 v28, 16, v17
	;; [unrolled: 1-line block ×8, first 2 shown]
	s_and_b64 s[20:21], s[20:21], exec
.LBB4_390:                              ;   in Loop: Header=BB4_49 Depth=1
	s_or_b64 exec, exec, s[18:19]
	s_and_saveexec_b64 s[18:19], s[20:21]
	s_cbranch_execz .LBB4_408
; %bb.391:                              ;   in Loop: Header=BB4_49 Depth=1
	v_mul_f32_e32 v13, v28, v27
	v_and_b32_e32 v12, 0x7f800000, v13
	v_cmp_ne_u32_e32 vcc, s72, v12
                                        ; implicit-def: $vgpr12
	s_and_saveexec_b64 s[20:21], vcc
	s_xor_b64 s[20:21], exec, s[20:21]
; %bb.392:                              ;   in Loop: Header=BB4_49 Depth=1
	v_bfe_u32 v12, v13, 16, 1
	v_add3_u32 v12, v13, v12, s73
                                        ; implicit-def: $vgpr13
; %bb.393:                              ;   in Loop: Header=BB4_49 Depth=1
	s_andn2_saveexec_b64 s[20:21], s[20:21]
; %bb.394:                              ;   in Loop: Header=BB4_49 Depth=1
	v_or_b32_e32 v12, 0x10000, v13
	v_cmp_eq_u32_sdwa vcc, v13, v55 src0_sel:WORD_0 src1_sel:DWORD
	s_nop 1
	v_cndmask_b32_e32 v12, v12, v13, vcc
; %bb.395:                              ;   in Loop: Header=BB4_49 Depth=1
	s_or_b64 exec, exec, s[20:21]
	v_mul_f32_e32 v17, v18, v17
	v_and_b32_e32 v13, 0x7f800000, v17
	v_cmp_ne_u32_e32 vcc, s72, v13
                                        ; implicit-def: $vgpr13
	s_and_saveexec_b64 s[20:21], vcc
	s_xor_b64 s[20:21], exec, s[20:21]
; %bb.396:                              ;   in Loop: Header=BB4_49 Depth=1
	v_bfe_u32 v13, v17, 16, 1
	v_add3_u32 v13, v17, v13, s73
                                        ; implicit-def: $vgpr17
; %bb.397:                              ;   in Loop: Header=BB4_49 Depth=1
	s_andn2_saveexec_b64 s[20:21], s[20:21]
; %bb.398:                              ;   in Loop: Header=BB4_49 Depth=1
	v_or_b32_e32 v13, 0x10000, v17
	v_cmp_eq_u32_sdwa vcc, v17, v55 src0_sel:WORD_0 src1_sel:DWORD
	s_nop 1
	v_cndmask_b32_e32 v13, v13, v17, vcc
; %bb.399:                              ;   in Loop: Header=BB4_49 Depth=1
	s_or_b64 exec, exec, s[20:21]
	v_mul_f32_e32 v16, v16, v15
	v_and_b32_e32 v15, 0x7f800000, v16
	v_cmp_ne_u32_e32 vcc, s72, v15
                                        ; implicit-def: $vgpr15
	s_and_saveexec_b64 s[20:21], vcc
	s_xor_b64 s[20:21], exec, s[20:21]
; %bb.400:                              ;   in Loop: Header=BB4_49 Depth=1
	v_bfe_u32 v15, v16, 16, 1
	v_add3_u32 v15, v16, v15, s73
                                        ; implicit-def: $vgpr16
; %bb.401:                              ;   in Loop: Header=BB4_49 Depth=1
	s_andn2_saveexec_b64 s[20:21], s[20:21]
; %bb.402:                              ;   in Loop: Header=BB4_49 Depth=1
	v_or_b32_e32 v15, 0x10000, v16
	v_cmp_eq_u32_sdwa vcc, v16, v55 src0_sel:WORD_0 src1_sel:DWORD
	s_nop 1
	v_cndmask_b32_e32 v15, v15, v16, vcc
; %bb.403:                              ;   in Loop: Header=BB4_49 Depth=1
	s_or_b64 exec, exec, s[20:21]
	v_mul_f32_e32 v11, v11, v10
	v_and_b32_e32 v10, 0x7f800000, v11
	v_cmp_ne_u32_e32 vcc, s72, v10
                                        ; implicit-def: $vgpr10
	s_and_saveexec_b64 s[20:21], vcc
	s_xor_b64 s[20:21], exec, s[20:21]
; %bb.404:                              ;   in Loop: Header=BB4_49 Depth=1
	v_bfe_u32 v10, v11, 16, 1
	v_add3_u32 v10, v11, v10, s73
                                        ; implicit-def: $vgpr11
; %bb.405:                              ;   in Loop: Header=BB4_49 Depth=1
	s_andn2_saveexec_b64 s[20:21], s[20:21]
; %bb.406:                              ;   in Loop: Header=BB4_49 Depth=1
	v_or_b32_e32 v10, 0x10000, v11
	v_cmp_eq_u32_sdwa vcc, v11, v55 src0_sel:WORD_0 src1_sel:DWORD
	s_nop 1
	v_cndmask_b32_e32 v10, v10, v11, vcc
; %bb.407:                              ;   in Loop: Header=BB4_49 Depth=1
	s_or_b64 exec, exec, s[20:21]
	flat_store_short_d16_hi v[2:3], v12 nt
	flat_store_short_d16_hi v[2:3], v13 offset:128 nt
	flat_store_short_d16_hi v[2:3], v15 offset:256 nt
	;; [unrolled: 1-line block ×3, first 2 shown]
.LBB4_408:                              ;   in Loop: Header=BB4_49 Depth=1
	s_or_b64 exec, exec, s[18:19]
	v_lshlrev_b32_e32 v2, 9, v47
	v_cmp_ne_u32_e32 vcc, v54, v2
	v_accvgpr_read_b32 v26, a26
	v_accvgpr_read_b32 v28, a28
	s_and_b64 s[18:19], exec, vcc
	v_accvgpr_read_b32 v20, a24
	v_accvgpr_read_b32 v27, a27
	;; [unrolled: 1-line block ×3, first 2 shown]
	s_mov_b64 exec, s[18:19]
	s_cbranch_execz .LBB4_434
; %bb.409:                              ;   in Loop: Header=BB4_49 Depth=1
	v_lshlrev_b32_e32 v3, 6, v14
	v_sub_u32_e32 v1, v1, v3
	v_ashrrev_i32_e32 v3, 31, v1
	v_lshrrev_b32_e32 v3, 26, v3
	v_add_u32_e32 v3, v1, v3
	v_and_b32_e32 v10, 0x7fffffc0, v3
	v_sub_u32_e32 v1, v1, v10
	v_lshlrev_b32_e32 v3, 1, v3
	v_and_b32_e32 v3, 0xffffff80, v3
	v_lshlrev_b32_e32 v1, 1, v1
	v_add3_u32 v1, v3, v1, v2
	v_add_u32_e32 v10, v1, v0
	v_accvgpr_read_b32 v2, a30
	v_sub_u32_e32 v0, v54, v1
	v_ashrrev_i32_e32 v11, 31, v10
	v_accvgpr_read_b32 v3, a31
	v_lshl_add_u64 v[2:3], v[2:3], 0, v[10:11]
	v_cmp_lt_i32_e32 vcc, 1, v0
	s_mov_b64 s[18:19], 0
	s_and_saveexec_b64 s[50:51], vcc
	s_cbranch_execz .LBB4_428
; %bb.410:                              ;   in Loop: Header=BB4_49 Depth=1
	s_trap 2
	ds_read_b128 v[12:15], v0
	s_mov_b64 s[56:57], 0
	s_mov_b64 s[52:53], 0
                                        ; implicit-def: $sgpr54_sgpr55
	s_waitcnt lgkmcnt(0)
	v_lshl_add_u64 v[12:13], v[12:13], 0, v[10:11]
	v_lshl_add_u64 v[10:11], v[14:15], 0, v[10:11]
	s_branch .LBB4_412
.LBB4_411:                              ;   in Loop: Header=BB4_412 Depth=2
	s_or_b64 exec, exec, s[18:19]
	v_lshrrev_b32_e32 v1, 16, v1
	scratch_store_short off, v1, s33 offset:64
	flat_store_short v[2:3], v1 nt
	v_mov_b32_e32 v1, 0x80
	v_cndmask_b32_e64 v18, v1, v28, s[56:57]
	v_cndmask_b32_e64 v1, 0, v20, s[56:57]
	v_sub_u32_e32 v0, v0, v1
	v_cmp_gt_i32_e32 vcc, 2, v0
	s_or_b64 s[52:53], vcc, s[52:53]
	v_lshl_add_u64 v[14:15], v[12:13], 0, v[26:27]
	v_lshl_add_u64 v[16:17], v[10:11], 0, v[26:27]
	v_cndmask_b32_e64 v19, 0, v29, s[56:57]
	s_andn2_b64 s[18:19], s[54:55], exec
	s_and_b64 s[20:21], s[56:57], exec
	v_lshl_add_u64 v[2:3], v[2:3], 0, v[18:19]
	v_cndmask_b32_e64 v11, v11, v17, s[56:57]
	v_cndmask_b32_e64 v10, v10, v16, s[56:57]
	v_cndmask_b32_e64 v13, v13, v15, s[56:57]
	v_cndmask_b32_e64 v12, v12, v14, s[56:57]
	s_or_b64 s[54:55], s[18:19], s[20:21]
	s_andn2_b64 exec, exec, s[52:53]
	s_cbranch_execz .LBB4_427
.LBB4_412:                              ;   Parent Loop BB4_49 Depth=1
                                        ; =>  This Loop Header: Depth=2
                                        ;       Child Loop BB4_413 Depth 3
                                        ;       Child Loop BB4_422 Depth 3
	s_add_i32 s18, s33, 64
	v_mov_b32_e32 v1, s18
	s_mov_b64 s[58:59], -1
	s_mov_b64 s[60:61], 0
.LBB4_413:                              ;   Parent Loop BB4_49 Depth=1
                                        ;     Parent Loop BB4_412 Depth=2
                                        ; =>    This Inner Loop Header: Depth=3
	s_cmp_eq_u32 s60, 1
	s_cselect_b64 vcc, -1, 0
	v_cndmask_b32_e32 v15, v13, v11, vcc
	v_cndmask_b32_e32 v14, v12, v10, vcc
	flat_load_ushort v16, v[14:15] nt
	s_cmp_eq_u32 s60, 0
	v_lshl_add_u64 v[14:15], v[14:15], 0, s[40:41]
	s_cselect_b64 s[18:19], -1, 0
	s_and_b64 s[20:21], exec, s[58:59]
	v_cndmask_b32_e64 v13, v13, v15, s[18:19]
	v_cndmask_b32_e64 v12, v12, v14, s[18:19]
	s_add_i32 s18, s33, 0x60
	s_mov_b64 s[60:61], 1
	s_mov_b64 s[58:59], 0
	v_cndmask_b32_e32 v11, v11, v15, vcc
	v_cndmask_b32_e32 v10, v10, v14, vcc
	s_mov_b64 vcc, s[20:21]
	s_waitcnt vmcnt(0) lgkmcnt(0)
	scratch_store_short v1, v16, off
	v_mov_b32_e32 v1, s18
	s_cbranch_vccnz .LBB4_413
; %bb.414:                              ;   in Loop: Header=BB4_412 Depth=2
	s_and_saveexec_b64 s[18:19], s[56:57]
	s_cbranch_execz .LBB4_420
; %bb.415:                              ;   in Loop: Header=BB4_412 Depth=2
	scratch_load_ushort v1, off, s33 offset:62
	scratch_load_ushort v15, off, s33 offset:60
	s_waitcnt vmcnt(1)
	v_lshlrev_b32_e32 v14, 16, v1
	s_waitcnt vmcnt(0)
	v_lshlrev_b32_e32 v16, 16, v15
	v_pk_mul_f32 v[14:15], v[14:15], v[16:17] op_sel_hi:[0,1]
	v_and_b32_e32 v1, 0x7f800000, v14
	v_cmp_ne_u32_e32 vcc, s72, v1
                                        ; implicit-def: $vgpr1
	s_and_saveexec_b64 s[20:21], vcc
	s_xor_b64 s[20:21], exec, s[20:21]
; %bb.416:                              ;   in Loop: Header=BB4_412 Depth=2
	v_bfe_u32 v1, v14, 16, 1
	v_add3_u32 v1, v14, v1, s73
                                        ; implicit-def: $vgpr14_vgpr15
; %bb.417:                              ;   in Loop: Header=BB4_412 Depth=2
	s_andn2_saveexec_b64 s[20:21], s[20:21]
; %bb.418:                              ;   in Loop: Header=BB4_412 Depth=2
	v_or_b32_e32 v1, 0x10000, v14
	v_cmp_eq_u32_sdwa vcc, v14, v55 src0_sel:WORD_0 src1_sel:DWORD
	s_nop 1
	v_cndmask_b32_e32 v1, v1, v14, vcc
; %bb.419:                              ;   in Loop: Header=BB4_412 Depth=2
	s_or_b64 exec, exec, s[20:21]
	v_lshrrev_b32_e32 v1, 16, v1
	scratch_store_short off, v1, s33 offset:60
	flat_store_short v[2:3], v1 nt
	v_lshl_add_u64 v[2:3], v[2:3], 0, v[28:29]
.LBB4_420:                              ;   in Loop: Header=BB4_412 Depth=2
	s_or_b64 exec, exec, s[18:19]
	v_sub_u32_e32 v0, v0, v20
	v_lshl_add_u64 v[12:13], v[12:13], 0, v[26:27]
	v_lshl_add_u64 v[10:11], v[10:11], 0, v[26:27]
	v_cmp_lt_i32_e64 s[56:57], 1, v0
	s_and_saveexec_b64 s[58:59], s[56:57]
	s_cbranch_execz .LBB4_423
; %bb.421:                              ;   in Loop: Header=BB4_412 Depth=2
	s_add_i32 s18, s33, 60
	v_mov_b32_e32 v1, s18
	s_mov_b64 s[62:63], 0
	s_mov_b64 s[60:61], -1
.LBB4_422:                              ;   Parent Loop BB4_49 Depth=1
                                        ;     Parent Loop BB4_412 Depth=2
                                        ; =>    This Inner Loop Header: Depth=3
	s_cmp_eq_u32 s62, 1
	s_cselect_b64 vcc, -1, 0
	v_cndmask_b32_e32 v15, v13, v11, vcc
	v_cndmask_b32_e32 v14, v12, v10, vcc
	flat_load_ushort v16, v[14:15] nt
	s_cmp_eq_u32 s62, 0
	v_lshl_add_u64 v[14:15], v[14:15], 0, s[40:41]
	s_cselect_b64 s[18:19], -1, 0
	s_and_b64 s[20:21], exec, s[60:61]
	v_cndmask_b32_e64 v13, v13, v15, s[18:19]
	v_cndmask_b32_e64 v12, v12, v14, s[18:19]
	s_add_i32 s18, s33, 62
	s_mov_b64 s[62:63], 1
	s_mov_b64 s[60:61], 0
	v_cndmask_b32_e32 v11, v11, v15, vcc
	v_cndmask_b32_e32 v10, v10, v14, vcc
	s_mov_b64 vcc, s[20:21]
	s_waitcnt vmcnt(0) lgkmcnt(0)
	scratch_store_short v1, v16, off
	v_mov_b32_e32 v1, s18
	s_cbranch_vccnz .LBB4_422
.LBB4_423:                              ;   in Loop: Header=BB4_412 Depth=2
	s_or_b64 exec, exec, s[58:59]
	scratch_load_ushort v1, off, s33 offset:96
	scratch_load_ushort v15, off, s33 offset:64
	s_waitcnt vmcnt(0)
	v_lshlrev_b32_e32 v14, 16, v1
	v_lshlrev_b32_e32 v16, 16, v15
	v_pk_mul_f32 v[14:15], v[14:15], v[16:17] op_sel_hi:[0,1]
	v_and_b32_e32 v1, 0x7f800000, v14
	v_cmp_ne_u32_e32 vcc, s72, v1
                                        ; implicit-def: $vgpr1
	s_and_saveexec_b64 s[18:19], vcc
	s_xor_b64 s[18:19], exec, s[18:19]
; %bb.424:                              ;   in Loop: Header=BB4_412 Depth=2
	v_bfe_u32 v1, v14, 16, 1
	v_add3_u32 v1, v14, v1, s73
                                        ; implicit-def: $vgpr14_vgpr15
; %bb.425:                              ;   in Loop: Header=BB4_412 Depth=2
	s_andn2_saveexec_b64 s[18:19], s[18:19]
	s_cbranch_execz .LBB4_411
; %bb.426:                              ;   in Loop: Header=BB4_412 Depth=2
	v_or_b32_e32 v1, 0x10000, v14
	v_cmp_eq_u32_sdwa vcc, v14, v55 src0_sel:WORD_0 src1_sel:DWORD
	s_nop 1
	v_cndmask_b32_e32 v1, v1, v14, vcc
	s_branch .LBB4_411
.LBB4_427:                              ;   in Loop: Header=BB4_49 Depth=1
	s_or_b64 exec, exec, s[52:53]
	s_and_b64 s[18:19], s[54:55], exec
.LBB4_428:                              ;   in Loop: Header=BB4_49 Depth=1
	s_or_b64 exec, exec, s[50:51]
	s_and_b64 exec, exec, s[18:19]
	s_cbranch_execz .LBB4_434
; %bb.429:                              ;   in Loop: Header=BB4_49 Depth=1
	scratch_load_ushort v0, off, s33 offset:62
	scratch_load_ushort v1, off, s33 offset:60
	s_waitcnt vmcnt(0)
	v_lshlrev_b32_e32 v0, 16, v0
	v_lshlrev_b32_e32 v10, 16, v1
	v_pk_mul_f32 v[10:11], v[0:1], v[10:11] op_sel_hi:[0,1]
	v_and_b32_e32 v0, 0x7f800000, v10
	v_cmp_ne_u32_e32 vcc, s72, v0
                                        ; implicit-def: $vgpr0
	s_and_saveexec_b64 s[18:19], vcc
	s_xor_b64 s[18:19], exec, s[18:19]
; %bb.430:                              ;   in Loop: Header=BB4_49 Depth=1
	v_bfe_u32 v0, v10, 16, 1
	v_add3_u32 v0, v10, v0, s73
                                        ; implicit-def: $vgpr10_vgpr11
; %bb.431:                              ;   in Loop: Header=BB4_49 Depth=1
	s_andn2_saveexec_b64 s[18:19], s[18:19]
; %bb.432:                              ;   in Loop: Header=BB4_49 Depth=1
	v_or_b32_e32 v0, 0x10000, v10
	v_cmp_eq_u32_sdwa vcc, v10, v55 src0_sel:WORD_0 src1_sel:DWORD
	s_nop 1
	v_cndmask_b32_e32 v0, v0, v10, vcc
; %bb.433:                              ;   in Loop: Header=BB4_49 Depth=1
	s_or_b64 exec, exec, s[18:19]
	flat_store_short_d16_hi v[2:3], v0 nt
.LBB4_434:                              ;   in Loop: Header=BB4_49 Depth=1
	s_or_b64 exec, exec, s[22:23]
	v_accvgpr_read_b32 v0, a25
	v_cmp_ne_u32_e64 s[18:19], 0, v0
.LBB4_435:                              ;   in Loop: Header=BB4_49 Depth=1
	s_and_saveexec_b64 s[20:21], s[6:7]
	s_cbranch_execz .LBB4_454
; %bb.436:                              ;   in Loop: Header=BB4_49 Depth=1
	s_and_saveexec_b64 s[22:23], s[34:35]
	s_xor_b64 s[22:23], exec, s[22:23]
	s_cbranch_execz .LBB4_451
; %bb.437:                              ;   in Loop: Header=BB4_49 Depth=1
	s_and_saveexec_b64 s[50:51], s[10:11]
	s_cbranch_execz .LBB4_450
; %bb.438:                              ;   in Loop: Header=BB4_49 Depth=1
	s_mov_b64 s[54:55], exec
	v_mbcnt_lo_u32_b32 v0, s54, 0
	v_mbcnt_hi_u32_b32 v0, s55, v0
	v_cmp_eq_u32_e32 vcc, 0, v0
	s_waitcnt lgkmcnt(0)
	s_and_saveexec_b64 s[52:53], vcc
	s_cbranch_execz .LBB4_440
; %bb.439:                              ;   in Loop: Header=BB4_49 Depth=1
	s_bcnt1_i32_b64 vcc_lo, s[54:55]
	v_mov_b32_e32 v54, vcc_lo
	ds_add_u64 v0, v[54:55]
	s_trap 2
.LBB4_440:                              ;   in Loop: Header=BB4_49 Depth=1
	s_or_b64 exec, exec, s[52:53]
	s_trap 2
	ds_read_b64 v[0:1], v0
	v_lshl_add_u64 v[32:33], v[32:33], 0, v[24:25]
	s_waitcnt lgkmcnt(0)
	v_cmp_lt_u64_e32 vcc, v[0:1], v[32:33]
	s_and_saveexec_b64 s[52:53], vcc
	s_cbranch_execz .LBB4_449
; %bb.441:                              ;   in Loop: Header=BB4_49 Depth=1
	s_mov_b32 s64, 0
	s_mov_b64 s[54:55], 0
                                        ; implicit-def: $sgpr56_sgpr57
                                        ; implicit-def: $sgpr58_sgpr59
	s_branch .LBB4_443
.LBB4_442:                              ;   in Loop: Header=BB4_443 Depth=2
	s_or_b64 exec, exec, s[62:63]
	s_and_b64 vcc, exec, vcc
	s_or_b64 s[54:55], vcc, s[54:55]
	s_andn2_b64 vcc, s[56:57], exec
	s_and_b64 s[56:57], s[58:59], exec
	s_or_b64 s[56:57], vcc, s[56:57]
	s_andn2_b64 exec, exec, s[54:55]
	s_cbranch_execz .LBB4_447
.LBB4_443:                              ;   Parent Loop BB4_49 Depth=1
                                        ; =>  This Inner Loop Header: Depth=2
	s_add_i32 s64, s64, 1
	s_cmpk_lg_i32 s64, 0x2710
	s_cselect_b64 s[60:61], -1, 0
	s_and_b64 vcc, exec, s[60:61]
                                        ; implicit-def: $sgpr62_sgpr63
	s_cbranch_vccnz .LBB4_445
; %bb.444:                              ;   in Loop: Header=BB4_443 Depth=2
	s_trap 2
	ds_read_b64 v[0:1], v0
	s_andn2_b64 s[60:61], s[60:61], exec
	s_mov_b32 s64, 0
	s_mov_b64 s[62:63], -1
	s_waitcnt vmcnt(0) lgkmcnt(0)
	flat_load_dword v0, v[0:1] sc0 sc1
	s_waitcnt vmcnt(0) lgkmcnt(0)
	buffer_inv sc0 sc1
	v_cmp_eq_u32_e32 vcc, 0, v0
	s_and_b64 vcc, vcc, exec
	s_or_b64 s[60:61], s[60:61], vcc
.LBB4_445:                              ;   in Loop: Header=BB4_443 Depth=2
	s_andn2_b64 s[58:59], s[58:59], exec
	s_and_b64 s[62:63], s[62:63], exec
	s_mov_b64 vcc, -1
	s_or_b64 s[58:59], s[58:59], s[62:63]
	s_and_saveexec_b64 s[62:63], s[60:61]
	s_cbranch_execz .LBB4_442
; %bb.446:                              ;   in Loop: Header=BB4_443 Depth=2
	s_sleep 1
	s_trap 2
	ds_read_b64 v[0:1], v0
	s_andn2_b64 s[58:59], s[58:59], exec
	s_waitcnt lgkmcnt(0)
	v_cmp_ge_u64_e32 vcc, v[0:1], v[32:33]
	s_orn2_b64 vcc, vcc, exec
	s_branch .LBB4_442
.LBB4_447:                              ;   in Loop: Header=BB4_49 Depth=1
	s_or_b64 exec, exec, s[54:55]
	s_and_saveexec_b64 vcc, s[56:57]
	s_xor_b64 vcc, exec, vcc
	s_cbranch_execz .LBB4_449
; %bb.448:                              ;   in Loop: Header=BB4_49 Depth=1
	v_mov_b32_e32 v0, 1
	ds_write_b32 v0, v0
	s_trap 2
.LBB4_449:                              ;   in Loop: Header=BB4_49 Depth=1
	s_or_b64 exec, exec, s[52:53]
	;;#ASMSTART
	s_wakeup
	;;#ASMEND
.LBB4_450:                              ;   in Loop: Header=BB4_49 Depth=1
	s_or_b64 exec, exec, s[50:51]
.LBB4_451:                              ;   in Loop: Header=BB4_49 Depth=1
	s_andn2_saveexec_b64 s[22:23], s[22:23]
	s_cbranch_execz .LBB4_453
; %bb.452:                              ;   in Loop: Header=BB4_49 Depth=1
	s_waitcnt lgkmcnt(0)
	s_barrier
.LBB4_453:                              ;   in Loop: Header=BB4_49 Depth=1
	s_or_b64 exec, exec, s[22:23]
.LBB4_454:                              ;   in Loop: Header=BB4_49 Depth=1
	s_or_b64 exec, exec, s[20:21]
	v_and_b32_e32 v0, 16, v62
	v_cmp_ne_u32_e32 vcc, 0, v0
	s_and_b64 s[20:21], vcc, s[18:19]
	s_and_saveexec_b64 s[18:19], s[20:21]
	s_cbranch_execz .LBB4_456
; %bb.455:                              ;   in Loop: Header=BB4_49 Depth=1
	buffer_wbl2 sc1
	s_waitcnt vmcnt(0) lgkmcnt(0)
	buffer_inv sc1
.LBB4_456:                              ;   in Loop: Header=BB4_49 Depth=1
	s_or_b64 exec, exec, s[18:19]
	v_cmp_ne_u32_e32 vcc, 0, v0
	s_xor_b64 s[18:19], s[16:17], -1
	s_and_b64 s[20:21], vcc, s[18:19]
	s_and_saveexec_b64 s[18:19], s[20:21]
	s_cbranch_execz .LBB4_458
; %bb.457:                              ;   in Loop: Header=BB4_49 Depth=1
	v_accvgpr_read_b32 v0, a14
	v_accvgpr_read_b32 v1, a15
	v_mov_b32_e32 v2, 1
	flat_store_dword v[0:1], v2 sc0 sc1
.LBB4_458:                              ;   in Loop: Header=BB4_49 Depth=1
	s_or_b64 exec, exec, s[18:19]
	v_and_b32_e32 v0, 48, v62
	v_cmp_ne_u32_e32 vcc, 0, v0
	s_and_saveexec_b64 s[18:19], vcc
	s_cbranch_execz .LBB4_460
; %bb.459:                              ;   in Loop: Header=BB4_49 Depth=1
	v_lshl_add_u64 v[8:9], v[8:9], 0, 1
	flat_store_dwordx2 v[34:35], v[8:9] sc0 sc1
.LBB4_460:                              ;   in Loop: Header=BB4_49 Depth=1
	s_or_b64 exec, exec, s[18:19]
	v_mov_b32_e32 v0, v31
.LBB4_461:                              ;   in Loop: Header=BB4_49 Depth=1
	s_or_b64 exec, exec, s[48:49]
	s_and_saveexec_b64 s[20:21], s[46:47]
	s_cbranch_execz .LBB4_48
; %bb.462:                              ;   in Loop: Header=BB4_49 Depth=1
	v_and_b32_e32 v1, 12, v62
	v_cmp_ne_u32_e32 vcc, 0, v1
	s_mov_b64 s[22:23], -1
	v_lshl_add_u64 v[10:11], v[8:9], 0, 1
	s_and_saveexec_b64 s[18:19], vcc
	s_cbranch_execz .LBB4_474
; %bb.463:                              ;   in Loop: Header=BB4_49 Depth=1
	v_and_b32_e32 v54, 8, v62
	v_lshl_add_u64 v[12:13], v[38:39], 0, v[54:55]
	v_lshl_add_u64 v[2:3], v[8:9], 0, 1
	v_cmp_lt_u64_e32 vcc, v[12:13], v[2:3]
	v_mov_b32_e32 v1, 1
	s_and_saveexec_b64 s[22:23], vcc
	s_cbranch_execz .LBB4_473
; %bb.464:                              ;   in Loop: Header=BB4_49 Depth=1
	s_mov_b64 s[46:47], 0
	v_mov_b32_e32 v1, 0
                                        ; implicit-def: $sgpr48_sgpr49
	s_branch .LBB4_468
.LBB4_465:                              ;   in Loop: Header=BB4_468 Depth=2
	s_or_b64 exec, exec, s[56:57]
	v_mov_b32_e32 v12, 0
	s_orn2_b64 s[54:55], s[54:55], exec
.LBB4_466:                              ;   in Loop: Header=BB4_468 Depth=2
	s_or_b64 exec, exec, s[52:53]
	s_andn2_b64 vcc, s[48:49], exec
	s_and_b64 s[48:49], s[54:55], exec
	s_or_b64 s[48:49], vcc, s[48:49]
	v_mov_b32_e32 v1, v12
.LBB4_467:                              ;   in Loop: Header=BB4_468 Depth=2
	s_or_b64 exec, exec, s[50:51]
	s_waitcnt vmcnt(0) lgkmcnt(0)
	v_lshl_add_u64 v[12:13], v[38:39], 0, v[54:55]
	v_cmp_ge_u64_e32 vcc, v[12:13], v[2:3]
	s_xor_b64 s[50:51], s[48:49], -1
	s_or_b64 vcc, s[50:51], vcc
	s_and_b64 vcc, exec, vcc
	s_or_b64 s[46:47], vcc, s[46:47]
	s_andn2_b64 exec, exec, s[46:47]
	s_cbranch_execz .LBB4_472
.LBB4_468:                              ;   Parent Loop BB4_49 Depth=1
                                        ; =>  This Inner Loop Header: Depth=2
	s_sleep 1
	flat_load_dwordx2 v[38:39], v[34:35] sc0 sc1
	v_and_b32_e32 v12, 64, v62
	v_cmp_eq_u32_e32 vcc, 0, v12
	s_andn2_b64 s[48:49], s[48:49], exec
	s_and_saveexec_b64 s[50:51], vcc
	s_cbranch_execz .LBB4_467
; %bb.469:                              ;   in Loop: Header=BB4_468 Depth=2
	v_add_u32_e32 v12, 1, v1
	v_cmp_lt_i32_e32 vcc, s70, v1
	s_mov_b64 s[54:55], -1
	s_and_saveexec_b64 s[52:53], vcc
	s_cbranch_execz .LBB4_466
; %bb.470:                              ;   in Loop: Header=BB4_468 Depth=2
	s_trap 2
	ds_read_b64 v[12:13], v0
	s_waitcnt vmcnt(0) lgkmcnt(0)
	flat_load_dword v1, v[12:13] sc0 sc1
	s_waitcnt vmcnt(0) lgkmcnt(0)
	buffer_inv sc0 sc1
	v_cmp_ne_u32_e32 vcc, 0, v1
	s_and_saveexec_b64 s[56:57], vcc
	s_cbranch_execz .LBB4_465
; %bb.471:                              ;   in Loop: Header=BB4_468 Depth=2
	v_or_b32_e32 v62, 64, v62
	s_xor_b64 s[54:55], exec, -1
	ds_write_b32 v0, v1
	s_trap 2
	s_branch .LBB4_465
.LBB4_472:                              ;   in Loop: Header=BB4_49 Depth=1
	s_or_b64 exec, exec, s[46:47]
	v_and_b32_e32 v1, 12, v62
.LBB4_473:                              ;   in Loop: Header=BB4_49 Depth=1
	s_or_b64 exec, exec, s[22:23]
	v_cmp_eq_u32_e32 vcc, 0, v1
	s_orn2_b64 s[22:23], vcc, exec
	;;#ASMSTART
	s_wakeup
	;;#ASMEND
.LBB4_474:                              ;   in Loop: Header=BB4_49 Depth=1
	s_or_b64 exec, exec, s[18:19]
	v_sub_u32_e32 v0, v22, v0
	s_xor_b64 s[18:19], s[22:23], -1
	v_min_i32_e32 v2, v31, v0
	s_and_saveexec_b64 s[22:23], s[18:19]
	s_cbranch_execz .LBB4_486
; %bb.475:                              ;   in Loop: Header=BB4_49 Depth=1
	v_and_b32_e32 v0, 0x108, v62
	v_cmp_ne_u32_e32 vcc, s71, v0
	v_and_b32_e32 v8, 7, v8
	s_and_saveexec_b64 s[18:19], vcc
	s_xor_b64 s[18:19], exec, s[18:19]
	s_andn2_saveexec_b64 s[18:19], s[18:19]
	s_cbranch_execz .LBB4_477
; %bb.476:                              ;   in Loop: Header=BB4_49 Depth=1
	v_ashrrev_i32_e32 v3, 31, v2
	v_mad_u64_u32 v[0:1], vcc, v8, 24, v[6:7]
	v_lshlrev_b64 v[12:13], 1, v[2:3]
	flat_store_dwordx2 v[0:1], v[12:13] offset:8
.LBB4_477:                              ;   in Loop: Header=BB4_49 Depth=1
	s_or_b64 exec, exec, s[18:19]
	v_and_b32_e32 v0, 0x100, v62
	v_cmp_ne_u32_e32 vcc, 0, v0
	s_mov_b64 s[18:19], -1
                                        ; implicit-def: $vgpr12_vgpr13
	s_and_saveexec_b64 s[46:47], vcc
	s_cbranch_execz .LBB4_481
; %bb.478:                              ;   in Loop: Header=BB4_49 Depth=1
	v_mad_u64_u32 v[14:15], s[18:19], v8, 24, v[6:7]
	v_mov_b32_e32 v0, v15
	v_mad_u64_u32 v[0:1], s[18:19], v55, 24, v[0:1]
	v_mov_b32_e32 v15, v0
	flat_load_dword v0, v[14:15]
                                        ; implicit-def: $vgpr12_vgpr13
	s_waitcnt vmcnt(0) lgkmcnt(0)
	v_cmp_ne_u32_e32 vcc, 1, v0
	v_cmp_eq_u32_e64 s[18:19], 1, v0
	s_and_saveexec_b64 s[48:49], s[18:19]
	s_cbranch_execz .LBB4_480
; %bb.479:                              ;   in Loop: Header=BB4_49 Depth=1
	flat_load_dword v0, v[14:15] offset:4 sc0 sc1
	s_waitcnt vmcnt(0) lgkmcnt(0)
	v_ashrrev_i32_e32 v1, 31, v0
	v_lshrrev_b64 v[12:13], 1, v[0:1]
.LBB4_480:                              ;   in Loop: Header=BB4_49 Depth=1
	s_or_b64 exec, exec, s[48:49]
	s_orn2_b64 s[18:19], vcc, exec
.LBB4_481:                              ;   in Loop: Header=BB4_49 Depth=1
	s_or_b64 exec, exec, s[46:47]
	s_and_saveexec_b64 vcc, s[18:19]
; %bb.482:                              ;   in Loop: Header=BB4_49 Depth=1
	v_accvgpr_read_b32 v12, a10
	v_accvgpr_read_b32 v1, a11
	v_mul_lo_u32 v0, v55, v12
	v_mul_lo_u32 v1, v8, v1
	v_mad_u64_u32 v[12:13], s[18:19], v8, v12, 0
	v_add3_u32 v13, v13, v1, v0
; %bb.483:                              ;   in Loop: Header=BB4_49 Depth=1
	s_or_b64 exec, exec, vcc
	v_accvgpr_read_b32 v0, a12
	v_accvgpr_read_b32 v1, a13
	v_lshl_add_u64 v[0:1], v[12:13], 1, v[0:1]
	s_trap 2
	ds_write_b64 v0, v[0:1]
	v_and_b32_e32 v0, 0x2000, v62
	v_cmp_ne_u32_e32 vcc, 0, v0
	s_and_saveexec_b64 s[18:19], vcc
	s_cbranch_execz .LBB4_485
; %bb.484:                              ;   in Loop: Header=BB4_49 Depth=1
	ds_read_b64 v[0:1], v0 offset:584
	s_waitcnt lgkmcnt(0)
	v_lshl_add_u64 v[0:1], v[0:1], 0, 1
	ds_write_b64 v0, v[0:1] offset:584
.LBB4_485:                              ;   in Loop: Header=BB4_49 Depth=1
	s_or_b64 exec, exec, s[18:19]
	v_mov_b64_e32 v[8:9], v[10:11]
.LBB4_486:                              ;   in Loop: Header=BB4_49 Depth=1
	s_or_b64 exec, exec, s[22:23]
	s_and_saveexec_b64 s[18:19], s[6:7]
	s_cbranch_execz .LBB4_505
; %bb.487:                              ;   in Loop: Header=BB4_49 Depth=1
	s_and_saveexec_b64 s[22:23], s[34:35]
	s_xor_b64 s[22:23], exec, s[22:23]
	s_cbranch_execz .LBB4_502
; %bb.488:                              ;   in Loop: Header=BB4_49 Depth=1
	s_and_saveexec_b64 s[46:47], s[10:11]
	s_cbranch_execz .LBB4_501
; %bb.489:                              ;   in Loop: Header=BB4_49 Depth=1
	s_mov_b64 s[50:51], exec
	v_mbcnt_lo_u32_b32 v0, s50, 0
	v_mbcnt_hi_u32_b32 v0, s51, v0
	v_cmp_eq_u32_e32 vcc, 0, v0
	s_waitcnt lgkmcnt(0)
	s_and_saveexec_b64 s[48:49], vcc
	s_cbranch_execz .LBB4_491
; %bb.490:                              ;   in Loop: Header=BB4_49 Depth=1
	s_bcnt1_i32_b64 vcc_lo, s[50:51]
	v_mov_b32_e32 v54, vcc_lo
	ds_add_u64 v0, v[54:55]
	s_trap 2
.LBB4_491:                              ;   in Loop: Header=BB4_49 Depth=1
	s_or_b64 exec, exec, s[48:49]
	s_trap 2
	ds_read_b64 v[0:1], v0
	v_lshl_add_u64 v[32:33], v[32:33], 0, v[24:25]
	s_waitcnt lgkmcnt(0)
	v_cmp_lt_u64_e32 vcc, v[0:1], v[32:33]
	s_and_saveexec_b64 s[48:49], vcc
	s_cbranch_execz .LBB4_500
; %bb.492:                              ;   in Loop: Header=BB4_49 Depth=1
	s_mov_b32 s60, 0
	s_mov_b64 s[50:51], 0
                                        ; implicit-def: $sgpr52_sgpr53
                                        ; implicit-def: $sgpr54_sgpr55
	s_branch .LBB4_494
.LBB4_493:                              ;   in Loop: Header=BB4_494 Depth=2
	s_or_b64 exec, exec, s[58:59]
	s_and_b64 vcc, exec, vcc
	s_or_b64 s[50:51], vcc, s[50:51]
	s_andn2_b64 vcc, s[52:53], exec
	s_and_b64 s[52:53], s[54:55], exec
	s_or_b64 s[52:53], vcc, s[52:53]
	s_andn2_b64 exec, exec, s[50:51]
	s_cbranch_execz .LBB4_498
.LBB4_494:                              ;   Parent Loop BB4_49 Depth=1
                                        ; =>  This Inner Loop Header: Depth=2
	s_add_i32 s60, s60, 1
	s_cmpk_lg_i32 s60, 0x2710
	s_cselect_b64 s[56:57], -1, 0
	s_and_b64 vcc, exec, s[56:57]
                                        ; implicit-def: $sgpr58_sgpr59
	s_cbranch_vccnz .LBB4_496
; %bb.495:                              ;   in Loop: Header=BB4_494 Depth=2
	s_trap 2
	ds_read_b64 v[0:1], v0
	s_andn2_b64 s[56:57], s[56:57], exec
	s_mov_b32 s60, 0
	s_mov_b64 s[58:59], -1
	s_waitcnt vmcnt(0) lgkmcnt(0)
	flat_load_dword v0, v[0:1] sc0 sc1
	s_waitcnt vmcnt(0) lgkmcnt(0)
	buffer_inv sc0 sc1
	v_cmp_eq_u32_e32 vcc, 0, v0
	s_and_b64 vcc, vcc, exec
	s_or_b64 s[56:57], s[56:57], vcc
.LBB4_496:                              ;   in Loop: Header=BB4_494 Depth=2
	s_andn2_b64 s[54:55], s[54:55], exec
	s_and_b64 s[58:59], s[58:59], exec
	s_mov_b64 vcc, -1
	s_or_b64 s[54:55], s[54:55], s[58:59]
	s_and_saveexec_b64 s[58:59], s[56:57]
	s_cbranch_execz .LBB4_493
; %bb.497:                              ;   in Loop: Header=BB4_494 Depth=2
	s_sleep 1
	s_trap 2
	ds_read_b64 v[0:1], v0
	s_andn2_b64 s[54:55], s[54:55], exec
	s_waitcnt lgkmcnt(0)
	v_cmp_ge_u64_e32 vcc, v[0:1], v[32:33]
	s_orn2_b64 vcc, vcc, exec
	s_branch .LBB4_493
.LBB4_498:                              ;   in Loop: Header=BB4_49 Depth=1
	s_or_b64 exec, exec, s[50:51]
	s_and_saveexec_b64 vcc, s[52:53]
	s_xor_b64 vcc, exec, vcc
	s_cbranch_execz .LBB4_500
; %bb.499:                              ;   in Loop: Header=BB4_49 Depth=1
	v_mov_b32_e32 v0, 1
	ds_write_b32 v0, v0
	s_trap 2
.LBB4_500:                              ;   in Loop: Header=BB4_49 Depth=1
	s_or_b64 exec, exec, s[48:49]
	;;#ASMSTART
	s_wakeup
	;;#ASMEND
.LBB4_501:                              ;   in Loop: Header=BB4_49 Depth=1
	s_or_b64 exec, exec, s[46:47]
.LBB4_502:                              ;   in Loop: Header=BB4_49 Depth=1
	s_andn2_saveexec_b64 s[22:23], s[22:23]
	s_cbranch_execz .LBB4_504
; %bb.503:                              ;   in Loop: Header=BB4_49 Depth=1
	s_waitcnt lgkmcnt(0)
	s_barrier
.LBB4_504:                              ;   in Loop: Header=BB4_49 Depth=1
	s_or_b64 exec, exec, s[22:23]
.LBB4_505:                              ;   in Loop: Header=BB4_49 Depth=1
	s_or_b64 exec, exec, s[18:19]
	s_trap 2
	ds_read_b32 v1, v0
	v_cmp_lt_i32_e32 vcc, 0, v2
	v_and_b32_e32 v0, 16, v62
	s_waitcnt lgkmcnt(0)
	v_readfirstlane_b32 s18, v1
	s_cmp_eq_u32 s18, 0
	s_cselect_b64 s[18:19], -1, 0
	s_and_b64 s[18:19], vcc, s[18:19]
	v_cmp_ne_u32_e32 vcc, 0, v0
	s_and_b64 s[22:23], vcc, s[18:19]
	s_and_saveexec_b64 s[18:19], s[22:23]
	s_cbranch_execz .LBB4_507
; %bb.506:                              ;   in Loop: Header=BB4_49 Depth=1
	buffer_wbl2 sc1
	s_waitcnt vmcnt(0)
	buffer_inv sc1
.LBB4_507:                              ;   in Loop: Header=BB4_49 Depth=1
	s_or_b64 exec, exec, s[18:19]
	v_cmp_ne_u32_e32 vcc, 0, v0
	s_xor_b64 s[18:19], s[16:17], -1
	s_and_b64 s[22:23], vcc, s[18:19]
	s_and_saveexec_b64 s[18:19], s[22:23]
	s_cbranch_execz .LBB4_509
; %bb.508:                              ;   in Loop: Header=BB4_49 Depth=1
	v_accvgpr_read_b32 v0, a14
	v_accvgpr_read_b32 v1, a15
	v_mov_b32_e32 v2, 1
	flat_store_dword v[0:1], v2 sc0 sc1
.LBB4_509:                              ;   in Loop: Header=BB4_49 Depth=1
	s_or_b64 exec, exec, s[18:19]
	v_and_b32_e32 v0, 48, v62
	v_cmp_ne_u32_e32 vcc, 0, v0
	s_and_saveexec_b64 s[18:19], vcc
	s_cbranch_execz .LBB4_47
; %bb.510:                              ;   in Loop: Header=BB4_49 Depth=1
	v_lshl_add_u64 v[8:9], v[8:9], 0, 1
	flat_store_dwordx2 v[34:35], v[8:9] sc0 sc1
	s_branch .LBB4_47
.LBB4_511:
	s_or_b64 exec, exec, s[42:43]
	v_accvgpr_read_b32 v25, a3
	v_accvgpr_read_b32 v22, a0
	;; [unrolled: 1-line block ×5, first 2 shown]
.LBB4_512:
	s_or_b64 exec, exec, s[30:31]
                                        ; implicit-def: $agpr4_agpr5
                                        ; implicit-def: $vgpr4_vgpr5
                                        ; implicit-def: $agpr10
                                        ; implicit-def: $vgpr38_vgpr39
                                        ; implicit-def: $agpr12_agpr13
                                        ; implicit-def: $vgpr34_vgpr35
                                        ; implicit-def: $vgpr27
                                        ; implicit-def: $vgpr0
                                        ; implicit-def: $vgpr50_vgpr51
.LBB4_513:
	s_andn2_saveexec_b64 s[20:21], s[28:29]
	s_cbranch_execz .LBB4_974
; %bb.514:
	v_mov_b64_e32 v[32:33], 0
	s_and_saveexec_b64 s[22:23], s[2:3]
	s_cbranch_execz .LBB4_973
; %bb.515:
	v_and_b32_e32 v1, 63, v31
	v_cmp_eq_u32_e64 s[6:7], 0, v1
	v_ashrrev_i32_e32 v1, 31, v27
	v_lshrrev_b32_e32 v1, 26, v1
	v_add_u32_e32 v1, v27, v1
	v_and_b32_e32 v2, 0xffffffc0, v1
	s_lshr_b32 s2, s68, 27
	v_accvgpr_write_b32 a0, v22
	v_cmp_ne_u32_sdwa s[28:29], v22, v23 src0_sel:WORD_0 src1_sel:DWORD
	v_lshrrev_b32_e32 v22, 6, v23
	v_sub_u32_e32 v2, v27, v2
	s_add_i32 s2, s68, s2
	v_cmp_le_i32_e64 s[10:11], v2, v0
	v_accvgpr_write_b32 a11, v2
	v_cmp_gt_i32_e64 s[12:13], 1, v2
	v_lshlrev_b32_e32 v2, 4, v27
	v_lshlrev_b32_e32 v36, 10, v22
	s_ashr_i32 s64, s2, 5
	v_ashrrev_i32_e32 v0, 6, v1
	v_ashrrev_i32_e32 v3, 31, v2
	v_add_u32_e32 v52, 0xfffffc00, v36
	v_sub_u32_e32 v0, 0, v0
	s_add_i32 s14, s33, 0x60
	v_accvgpr_write_b32 a17, v3
	v_ashrrev_i32_e32 v53, 31, v52
	s_mov_b64 s[30:31], 0x400
	s_waitcnt lgkmcnt(0)
	v_accvgpr_write_b32 a14, v0
	v_mov_b32_e32 v0, s14
	v_accvgpr_write_b32 a16, v2
	v_lshl_add_u64 v[2:3], v[52:53], 0, s[30:31]
	v_add_u32_e32 v30, 16, v0
	v_accvgpr_write_b32 a19, v3
	v_add_u32_e32 v37, 16, v0
	v_mov_b32_e32 v0, 0xfffffe00
	v_accvgpr_write_b32 a18, v2
	v_lshl_add_u32 v2, v22, 9, v0
	v_ashrrev_i32_e32 v3, 31, v2
	s_mov_b64 s[34:35], 0x200
	v_accvgpr_write_b32 a21, v3
	v_lshlrev_b32_e32 v0, 7, v22
	v_accvgpr_write_b32 a20, v2
	v_lshl_add_u64 v[42:43], v[2:3], 0, s[34:35]
	v_add_u32_e32 v2, 0xffffff80, v0
	v_ashrrev_i32_e32 v3, 31, v2
	s_mov_b64 s[36:37], 0x80
	v_accvgpr_write_b32 a2, v24
	s_add_i32 s14, s33, 64
	v_lshl_add_u64 v[10:11], v[2:3], 0, s[36:37]
	v_accvgpr_write_b32 a3, v25
	v_cmp_eq_u32_e32 vcc, 64, v23
	v_mov_b32_e32 v25, 0
	v_mov_b32_e32 v1, s14
	v_mov_b64_e32 v[56:57], 0
	v_accvgpr_write_b32 a23, v3
	v_accvgpr_write_b32 a25, v11
	v_cmp_ge_i32_e64 s[2:3], v27, v23
	v_cmp_ne_u32_e64 s[4:5], 64, v23
	v_accvgpr_write_b32 a8, v31
	v_accvgpr_write_b32 a1, v23
	v_mov_b32_e32 v23, v25
	v_accvgpr_write_b32 a9, v27
	v_add_u32_e32 v31, 16, v1
	v_add_u32_e32 v1, 16, v1
	s_mov_b64 s[38:39], 0
	s_movk_i32 s65, 0x270e
	s_xor_b64 s[40:41], vcc, -1
	s_mov_b32 s66, 0x7f800000
	s_movk_i32 s67, 0x7fff
	s_mov_b32 s69, 0xffff0000
	v_mov_b64_e32 v[32:33], v[56:57]
	v_accvgpr_write_b32 a15, v0
	v_accvgpr_write_b32 a22, v2
	;; [unrolled: 1-line block ×3, first 2 shown]
	s_trap 2
	s_branch .LBB4_518
.LBB4_516:                              ;   in Loop: Header=BB4_518 Depth=1
	s_or_b64 exec, exec, s[14:15]
.LBB4_517:                              ;   in Loop: Header=BB4_518 Depth=1
	s_or_b64 exec, exec, s[16:17]
	v_lshl_add_u64 v[56:57], v[56:57], 0, v[50:51]
	v_cmp_ge_u64_e32 vcc, v[56:57], v[4:5]
	s_or_b64 s[38:39], vcc, s[38:39]
	s_andn2_b64 exec, exec, s[38:39]
	s_cbranch_execz .LBB4_972
.LBB4_518:                              ; =>This Loop Header: Depth=1
                                        ;     Child Loop BB4_529 Depth 2
                                        ;     Child Loop BB4_551 Depth 2
	;; [unrolled: 1-line block ×4, first 2 shown]
                                        ;       Child Loop BB4_592 Depth 3
                                        ;       Child Loop BB4_629 Depth 3
                                        ;     Child Loop BB4_705 Depth 2
                                        ;       Child Loop BB4_706 Depth 3
                                        ;       Child Loop BB4_743 Depth 3
                                        ;     Child Loop BB4_820 Depth 2
                                        ;     Child Loop BB4_879 Depth 2
                                        ;       Child Loop BB4_880 Depth 3
                                        ;       Child Loop BB4_889 Depth 3
                                        ;     Child Loop BB4_910 Depth 2
                                        ;     Child Loop BB4_935 Depth 2
	;; [unrolled: 1-line block ×3, first 2 shown]
	v_sub_co_u32_e32 v2, vcc, v4, v56
	v_mov_b32_e32 v12, 0
	s_nop 0
	v_subb_co_u32_e32 v3, vcc, v5, v57, vcc
	v_cmp_lt_u64_e32 vcc, v[50:51], v[2:3]
	s_nop 1
	v_cndmask_b32_e64 v59, v3, 0, vcc
	v_cndmask_b32_e32 v58, v2, v50, vcc
	v_add_u32_e32 v0, 15, v58
	v_cmp_eq_u64_e32 vcc, 0, v[58:59]
	v_and_b32_e32 v0, 0x3ffffff0, v0
	s_or_b64 s[42:43], s[2:3], vcc
	v_max_i32_e32 v60, s64, v0
	s_xor_b64 s[14:15], s[42:43], -1
	s_and_saveexec_b64 s[44:45], s[14:15]
	s_cbranch_execz .LBB4_926
; %bb.519:                              ;   in Loop: Header=BB4_518 Depth=1
	s_and_saveexec_b64 s[14:15], s[0:1]
	s_cbranch_execz .LBB4_521
; %bb.520:                              ;   in Loop: Header=BB4_518 Depth=1
	s_trap 2
	ds_read2_b64 v[10:13], v0 offset1:1
	ds_read_b64 v[14:15], v0
	v_accvgpr_read_b32 v2, a4
	v_accvgpr_read_b32 v3, a5
	v_lshl_add_u64 v[2:3], v[56:57], 0, v[2:3]
	v_lshlrev_b64 v[2:3], 1, v[2:3]
	s_waitcnt lgkmcnt(0)
	v_lshl_add_u64 v[10:11], v[10:11], 0, v[2:3]
	ds_write_b64 v0, v[10:11]
	v_lshl_add_u64 v[10:11], v[12:13], 0, v[2:3]
	v_lshl_add_u64 v[2:3], v[14:15], 0, v[2:3]
	v_cmp_ne_u64_e32 vcc, 0, v[14:15]
	ds_write_b64 v0, v[10:11]
	s_nop 0
	v_cndmask_b32_e32 v3, 0, v3, vcc
	v_cndmask_b32_e32 v2, 0, v2, vcc
	ds_write_b64 v0, v[2:3]
.LBB4_521:                              ;   in Loop: Header=BB4_518 Depth=1
	s_or_b64 exec, exec, s[14:15]
	v_and_b32_e32 v0, 4, v62
	v_cmp_ne_u32_e32 vcc, 0, v0
	s_mov_b64 s[16:17], -1
	v_lshl_add_u64 v[2:3], v[8:9], 0, 1
	s_and_saveexec_b64 s[14:15], vcc
	s_cbranch_execnz .LBB4_524
; %bb.522:                              ;   in Loop: Header=BB4_518 Depth=1
	s_or_b64 exec, exec, s[14:15]
	s_xor_b64 s[14:15], s[16:17], -1
	s_and_saveexec_b64 s[16:17], s[14:15]
	s_cbranch_execnz .LBB4_535
.LBB4_523:                              ;   in Loop: Header=BB4_518 Depth=1
	s_or_b64 exec, exec, s[16:17]
	s_and_saveexec_b64 s[14:15], s[4:5]
	s_cbranch_execnz .LBB4_544
	s_branch .LBB4_562
.LBB4_524:                              ;   in Loop: Header=BB4_518 Depth=1
	v_lshl_add_u64 v[10:11], v[8:9], 0, 1
	v_cmp_lt_u64_e32 vcc, v[38:39], v[10:11]
	v_mov_b32_e32 v0, 1
	s_and_saveexec_b64 s[16:17], vcc
	s_cbranch_execz .LBB4_534
; %bb.525:                              ;   in Loop: Header=BB4_518 Depth=1
	s_mov_b64 s[18:19], 0
	v_mov_b32_e32 v0, 0
                                        ; implicit-def: $sgpr46_sgpr47
	s_branch .LBB4_529
.LBB4_526:                              ;   in Loop: Header=BB4_529 Depth=2
	s_or_b64 exec, exec, s[54:55]
	v_mov_b32_e32 v12, 0
	s_orn2_b64 s[52:53], s[52:53], exec
.LBB4_527:                              ;   in Loop: Header=BB4_529 Depth=2
	s_or_b64 exec, exec, s[50:51]
	s_andn2_b64 vcc, s[46:47], exec
	s_and_b64 s[46:47], s[52:53], exec
	s_or_b64 s[46:47], vcc, s[46:47]
	v_mov_b32_e32 v0, v12
.LBB4_528:                              ;   in Loop: Header=BB4_529 Depth=2
	s_or_b64 exec, exec, s[48:49]
	s_waitcnt vmcnt(0) lgkmcnt(0)
	v_cmp_ge_u64_e32 vcc, v[38:39], v[10:11]
	s_xor_b64 s[48:49], s[46:47], -1
	s_or_b64 vcc, s[48:49], vcc
	s_and_b64 vcc, exec, vcc
	s_or_b64 s[18:19], vcc, s[18:19]
	s_andn2_b64 exec, exec, s[18:19]
	s_cbranch_execz .LBB4_533
.LBB4_529:                              ;   Parent Loop BB4_518 Depth=1
                                        ; =>  This Inner Loop Header: Depth=2
	s_sleep 1
	flat_load_dwordx2 v[38:39], v[34:35] sc0 sc1
	v_and_b32_e32 v12, 64, v62
	v_cmp_eq_u32_e32 vcc, 0, v12
	s_andn2_b64 s[46:47], s[46:47], exec
	s_and_saveexec_b64 s[48:49], vcc
	s_cbranch_execz .LBB4_528
; %bb.530:                              ;   in Loop: Header=BB4_529 Depth=2
	v_add_u32_e32 v12, 1, v0
	v_cmp_lt_i32_e32 vcc, s65, v0
	s_mov_b64 s[52:53], -1
	s_and_saveexec_b64 s[50:51], vcc
	s_cbranch_execz .LBB4_527
; %bb.531:                              ;   in Loop: Header=BB4_529 Depth=2
	s_trap 2
	ds_read_b64 v[12:13], v0
	s_waitcnt vmcnt(0) lgkmcnt(0)
	flat_load_dword v0, v[12:13] sc0 sc1
	s_waitcnt vmcnt(0) lgkmcnt(0)
	buffer_inv sc0 sc1
	v_cmp_ne_u32_e32 vcc, 0, v0
	s_and_saveexec_b64 s[54:55], vcc
	s_cbranch_execz .LBB4_526
; %bb.532:                              ;   in Loop: Header=BB4_529 Depth=2
	v_or_b32_e32 v62, 64, v62
	s_xor_b64 s[52:53], exec, -1
	ds_write_b32 v0, v0
	s_trap 2
	s_branch .LBB4_526
.LBB4_533:                              ;   in Loop: Header=BB4_518 Depth=1
	s_or_b64 exec, exec, s[18:19]
	v_and_b32_e32 v0, 4, v62
.LBB4_534:                              ;   in Loop: Header=BB4_518 Depth=1
	s_or_b64 exec, exec, s[16:17]
	v_cmp_eq_u32_e32 vcc, 0, v0
	s_orn2_b64 s[16:17], vcc, exec
	;;#ASMSTART
	s_wakeup
	;;#ASMEND
	s_or_b64 exec, exec, s[14:15]
	s_xor_b64 s[14:15], s[16:17], -1
	s_and_saveexec_b64 s[16:17], s[14:15]
	s_cbranch_execz .LBB4_523
.LBB4_535:                              ;   in Loop: Header=BB4_518 Depth=1
	v_and_b32_e32 v0, 0x100, v62
	v_cmp_ne_u32_e32 vcc, 0, v0
	v_and_b32_e32 v0, 7, v8
	s_mov_b64 s[14:15], -1
                                        ; implicit-def: $vgpr8_vgpr9
	s_and_saveexec_b64 s[18:19], vcc
	s_cbranch_execz .LBB4_539
; %bb.536:                              ;   in Loop: Header=BB4_518 Depth=1
	v_mad_u64_u32 v[10:11], s[14:15], v0, 24, v[6:7]
	flat_load_dword v8, v[10:11]
	s_waitcnt vmcnt(0) lgkmcnt(0)
	v_cmp_ne_u32_e32 vcc, 1, v8
	v_cmp_eq_u32_e64 s[14:15], 1, v8
                                        ; implicit-def: $vgpr8_vgpr9
	s_and_saveexec_b64 s[46:47], s[14:15]
	s_cbranch_execz .LBB4_538
; %bb.537:                              ;   in Loop: Header=BB4_518 Depth=1
	flat_load_dword v8, v[10:11] offset:4 sc0 sc1
	s_waitcnt vmcnt(0) lgkmcnt(0)
	v_ashrrev_i32_e32 v9, 31, v8
	v_lshrrev_b64 v[8:9], 1, v[8:9]
.LBB4_538:                              ;   in Loop: Header=BB4_518 Depth=1
	s_or_b64 exec, exec, s[46:47]
	s_orn2_b64 s[14:15], vcc, exec
.LBB4_539:                              ;   in Loop: Header=BB4_518 Depth=1
	s_or_b64 exec, exec, s[18:19]
	s_and_saveexec_b64 s[18:19], s[14:15]
; %bb.540:                              ;   in Loop: Header=BB4_518 Depth=1
	v_accvgpr_read_b32 v8, a10
	v_mad_i64_i32 v[8:9], s[14:15], v0, v8, 0
; %bb.541:                              ;   in Loop: Header=BB4_518 Depth=1
	s_or_b64 exec, exec, s[18:19]
	v_accvgpr_read_b32 v10, a12
	v_accvgpr_read_b32 v11, a13
	v_lshl_add_u64 v[8:9], v[8:9], 1, v[10:11]
	ds_write_b64 v0, v[8:9] offset:728
	v_and_b32_e32 v0, 0x2000, v62
	v_cmp_ne_u32_e32 vcc, 0, v0
	s_and_saveexec_b64 s[14:15], vcc
	s_cbranch_execz .LBB4_543
; %bb.542:                              ;   in Loop: Header=BB4_518 Depth=1
	ds_read_b64 v[8:9], v0 offset:584
	s_waitcnt lgkmcnt(0)
	v_lshl_add_u64 v[8:9], v[8:9], 0, 1
	ds_write_b64 v0, v[8:9] offset:584
.LBB4_543:                              ;   in Loop: Header=BB4_518 Depth=1
	s_or_b64 exec, exec, s[14:15]
	v_mov_b64_e32 v[8:9], v[2:3]
	s_or_b64 exec, exec, s[16:17]
	s_and_saveexec_b64 s[14:15], s[4:5]
	s_cbranch_execz .LBB4_562
.LBB4_544:                              ;   in Loop: Header=BB4_518 Depth=1
	s_and_saveexec_b64 s[16:17], s[28:29]
	s_xor_b64 s[16:17], exec, s[16:17]
	s_cbranch_execz .LBB4_559
; %bb.545:                              ;   in Loop: Header=BB4_518 Depth=1
	s_and_saveexec_b64 s[18:19], s[6:7]
	s_cbranch_execz .LBB4_558
; %bb.546:                              ;   in Loop: Header=BB4_518 Depth=1
	s_mov_b64 s[48:49], exec
	v_mbcnt_lo_u32_b32 v0, s48, 0
	v_mbcnt_hi_u32_b32 v0, s49, v0
	v_cmp_eq_u32_e32 vcc, 0, v0
	s_waitcnt lgkmcnt(0)
	s_and_saveexec_b64 s[46:47], vcc
	s_cbranch_execz .LBB4_548
; %bb.547:                              ;   in Loop: Header=BB4_518 Depth=1
	s_bcnt1_i32_b64 vcc_lo, s[48:49]
	v_mov_b32_e32 v24, vcc_lo
	ds_add_u64 v0, v[24:25]
	s_trap 2
.LBB4_548:                              ;   in Loop: Header=BB4_518 Depth=1
	s_or_b64 exec, exec, s[46:47]
	s_trap 2
	ds_read_b64 v[2:3], v0
	v_lshl_add_u64 v[32:33], v[32:33], 0, v[22:23]
	s_waitcnt lgkmcnt(0)
	v_cmp_lt_u64_e32 vcc, v[2:3], v[32:33]
	s_and_saveexec_b64 s[46:47], vcc
	s_cbranch_execz .LBB4_557
; %bb.549:                              ;   in Loop: Header=BB4_518 Depth=1
	s_mov_b32 s58, 0
	s_mov_b64 s[48:49], 0
                                        ; implicit-def: $sgpr50_sgpr51
                                        ; implicit-def: $sgpr52_sgpr53
	s_branch .LBB4_551
.LBB4_550:                              ;   in Loop: Header=BB4_551 Depth=2
	s_or_b64 exec, exec, s[56:57]
	s_and_b64 vcc, exec, vcc
	s_or_b64 s[48:49], vcc, s[48:49]
	s_andn2_b64 vcc, s[50:51], exec
	s_and_b64 s[50:51], s[52:53], exec
	s_or_b64 s[50:51], vcc, s[50:51]
	s_andn2_b64 exec, exec, s[48:49]
	s_cbranch_execz .LBB4_555
.LBB4_551:                              ;   Parent Loop BB4_518 Depth=1
                                        ; =>  This Inner Loop Header: Depth=2
	s_add_i32 s58, s58, 1
	s_cmpk_lg_i32 s58, 0x2710
	s_cselect_b64 s[54:55], -1, 0
	s_and_b64 vcc, exec, s[54:55]
                                        ; implicit-def: $sgpr56_sgpr57
	s_cbranch_vccnz .LBB4_553
; %bb.552:                              ;   in Loop: Header=BB4_551 Depth=2
	s_trap 2
	ds_read_b64 v[2:3], v0
	s_andn2_b64 s[54:55], s[54:55], exec
	s_mov_b32 s58, 0
	s_mov_b64 s[56:57], -1
	s_waitcnt vmcnt(0) lgkmcnt(0)
	flat_load_dword v0, v[2:3] sc0 sc1
	s_waitcnt vmcnt(0) lgkmcnt(0)
	buffer_inv sc0 sc1
	v_cmp_eq_u32_e32 vcc, 0, v0
	s_and_b64 vcc, vcc, exec
	s_or_b64 s[54:55], s[54:55], vcc
.LBB4_553:                              ;   in Loop: Header=BB4_551 Depth=2
	s_andn2_b64 s[52:53], s[52:53], exec
	s_and_b64 s[56:57], s[56:57], exec
	s_mov_b64 vcc, -1
	s_or_b64 s[52:53], s[52:53], s[56:57]
	s_and_saveexec_b64 s[56:57], s[54:55]
	s_cbranch_execz .LBB4_550
; %bb.554:                              ;   in Loop: Header=BB4_551 Depth=2
	s_sleep 1
	s_trap 2
	ds_read_b64 v[2:3], v0
	s_andn2_b64 s[52:53], s[52:53], exec
	s_waitcnt lgkmcnt(0)
	v_cmp_ge_u64_e32 vcc, v[2:3], v[32:33]
	s_orn2_b64 vcc, vcc, exec
	s_branch .LBB4_550
.LBB4_555:                              ;   in Loop: Header=BB4_518 Depth=1
	s_or_b64 exec, exec, s[48:49]
	s_and_saveexec_b64 vcc, s[50:51]
	s_xor_b64 vcc, exec, vcc
	s_cbranch_execz .LBB4_557
; %bb.556:                              ;   in Loop: Header=BB4_518 Depth=1
	v_mov_b32_e32 v0, 1
	ds_write_b32 v0, v0
	s_trap 2
.LBB4_557:                              ;   in Loop: Header=BB4_518 Depth=1
	s_or_b64 exec, exec, s[46:47]
	;;#ASMSTART
	s_wakeup
	;;#ASMEND
.LBB4_558:                              ;   in Loop: Header=BB4_518 Depth=1
	s_or_b64 exec, exec, s[18:19]
.LBB4_559:                              ;   in Loop: Header=BB4_518 Depth=1
	s_andn2_saveexec_b64 s[16:17], s[16:17]
	s_cbranch_execz .LBB4_561
; %bb.560:                              ;   in Loop: Header=BB4_518 Depth=1
	s_waitcnt lgkmcnt(0)
	s_barrier
.LBB4_561:                              ;   in Loop: Header=BB4_518 Depth=1
	s_or_b64 exec, exec, s[16:17]
.LBB4_562:                              ;   in Loop: Header=BB4_518 Depth=1
	s_or_b64 exec, exec, s[14:15]
	s_trap 2
	ds_read_b32 v0, v0
	v_and_b32_e32 v2, 0x4000, v62
	v_cmp_ne_u32_e32 vcc, 0, v2
	s_and_b64 s[16:17], s[40:41], vcc
	s_and_saveexec_b64 s[14:15], s[16:17]
	s_cbranch_execz .LBB4_581
; %bb.563:                              ;   in Loop: Header=BB4_518 Depth=1
	s_and_saveexec_b64 s[16:17], s[28:29]
	s_xor_b64 s[16:17], exec, s[16:17]
	s_cbranch_execz .LBB4_578
; %bb.564:                              ;   in Loop: Header=BB4_518 Depth=1
	s_and_saveexec_b64 s[18:19], s[6:7]
	s_cbranch_execz .LBB4_577
; %bb.565:                              ;   in Loop: Header=BB4_518 Depth=1
	s_mov_b64 s[48:49], exec
	v_mbcnt_lo_u32_b32 v2, s48, 0
	v_mbcnt_hi_u32_b32 v2, s49, v2
	v_cmp_eq_u32_e32 vcc, 0, v2
	s_waitcnt lgkmcnt(0)
	s_and_saveexec_b64 s[46:47], vcc
	s_cbranch_execz .LBB4_567
; %bb.566:                              ;   in Loop: Header=BB4_518 Depth=1
	s_bcnt1_i32_b64 vcc_lo, s[48:49]
	v_mov_b32_e32 v24, vcc_lo
	ds_add_u64 v0, v[24:25]
	s_trap 2
.LBB4_567:                              ;   in Loop: Header=BB4_518 Depth=1
	s_or_b64 exec, exec, s[46:47]
	s_trap 2
	ds_read_b64 v[2:3], v0
	v_lshl_add_u64 v[32:33], v[32:33], 0, v[22:23]
	s_waitcnt lgkmcnt(0)
	v_cmp_lt_u64_e32 vcc, v[2:3], v[32:33]
	s_and_saveexec_b64 s[46:47], vcc
	s_cbranch_execz .LBB4_576
; %bb.568:                              ;   in Loop: Header=BB4_518 Depth=1
	s_mov_b32 s58, 0
	s_mov_b64 s[48:49], 0
                                        ; implicit-def: $sgpr50_sgpr51
                                        ; implicit-def: $sgpr52_sgpr53
	s_branch .LBB4_570
.LBB4_569:                              ;   in Loop: Header=BB4_570 Depth=2
	s_or_b64 exec, exec, s[56:57]
	s_and_b64 vcc, exec, vcc
	s_or_b64 s[48:49], vcc, s[48:49]
	s_andn2_b64 vcc, s[50:51], exec
	s_and_b64 s[50:51], s[52:53], exec
	s_or_b64 s[50:51], vcc, s[50:51]
	s_andn2_b64 exec, exec, s[48:49]
	s_cbranch_execz .LBB4_574
.LBB4_570:                              ;   Parent Loop BB4_518 Depth=1
                                        ; =>  This Inner Loop Header: Depth=2
	s_add_i32 s58, s58, 1
	s_cmpk_lg_i32 s58, 0x2710
	s_cselect_b64 s[54:55], -1, 0
	s_and_b64 vcc, exec, s[54:55]
                                        ; implicit-def: $sgpr56_sgpr57
	s_cbranch_vccnz .LBB4_572
; %bb.571:                              ;   in Loop: Header=BB4_570 Depth=2
	s_trap 2
	ds_read_b64 v[2:3], v0
	s_andn2_b64 s[54:55], s[54:55], exec
	s_mov_b32 s58, 0
	s_mov_b64 s[56:57], -1
	s_waitcnt vmcnt(0) lgkmcnt(0)
	flat_load_dword v2, v[2:3] sc0 sc1
	s_waitcnt vmcnt(0) lgkmcnt(0)
	buffer_inv sc0 sc1
	v_cmp_eq_u32_e32 vcc, 0, v2
	s_and_b64 vcc, vcc, exec
	s_or_b64 s[54:55], s[54:55], vcc
.LBB4_572:                              ;   in Loop: Header=BB4_570 Depth=2
	s_andn2_b64 s[52:53], s[52:53], exec
	s_and_b64 s[56:57], s[56:57], exec
	s_mov_b64 vcc, -1
	s_or_b64 s[52:53], s[52:53], s[56:57]
	s_and_saveexec_b64 s[56:57], s[54:55]
	s_cbranch_execz .LBB4_569
; %bb.573:                              ;   in Loop: Header=BB4_570 Depth=2
	s_sleep 1
	s_trap 2
	ds_read_b64 v[2:3], v0
	s_andn2_b64 s[52:53], s[52:53], exec
	s_waitcnt lgkmcnt(0)
	v_cmp_ge_u64_e32 vcc, v[2:3], v[32:33]
	s_orn2_b64 vcc, vcc, exec
	s_branch .LBB4_569
.LBB4_574:                              ;   in Loop: Header=BB4_518 Depth=1
	s_or_b64 exec, exec, s[48:49]
	s_and_saveexec_b64 vcc, s[50:51]
	s_xor_b64 vcc, exec, vcc
	s_cbranch_execz .LBB4_576
; %bb.575:                              ;   in Loop: Header=BB4_518 Depth=1
	v_mov_b32_e32 v2, 1
	ds_write_b32 v0, v2
	s_trap 2
.LBB4_576:                              ;   in Loop: Header=BB4_518 Depth=1
	s_or_b64 exec, exec, s[46:47]
	;;#ASMSTART
	s_wakeup
	;;#ASMEND
.LBB4_577:                              ;   in Loop: Header=BB4_518 Depth=1
	s_or_b64 exec, exec, s[18:19]
.LBB4_578:                              ;   in Loop: Header=BB4_518 Depth=1
	s_andn2_saveexec_b64 s[16:17], s[16:17]
	s_cbranch_execz .LBB4_580
; %bb.579:                              ;   in Loop: Header=BB4_518 Depth=1
	s_waitcnt lgkmcnt(0)
	s_barrier
.LBB4_580:                              ;   in Loop: Header=BB4_518 Depth=1
	s_or_b64 exec, exec, s[16:17]
.LBB4_581:                              ;   in Loop: Header=BB4_518 Depth=1
	s_or_b64 exec, exec, s[14:15]
	s_trap 2
	s_waitcnt lgkmcnt(0)
	ds_read_b64 v[2:3], v0
	v_min_u32_e32 v60, v60, v58
	s_waitcnt lgkmcnt(0)
	v_readfirstlane_b32 s14, v2
	v_readfirstlane_b32 s15, v3
	s_cmp_eq_u64 s[14:15], 0
	s_cselect_b64 s[14:15], -1, 0
	s_or_b64 s[16:17], s[14:15], s[14:15]
	s_mov_b64 s[14:15], 0
	s_and_b64 vcc, exec, s[16:17]
	s_cbranch_vccnz .LBB4_902
; %bb.582:                              ;   in Loop: Header=BB4_518 Depth=1
	s_mov_b64 s[16:17], -1
	s_and_saveexec_b64 s[14:15], s[10:11]
	s_cbranch_execz .LBB4_584
; %bb.583:                              ;   in Loop: Header=BB4_518 Depth=1
	ds_read_b32 v2, v0 offset:720
	s_waitcnt lgkmcnt(0)
	v_and_b32_e32 v2, 15, v2
	v_cmp_eq_u32_e32 vcc, 0, v2
	s_orn2_b64 s[16:17], vcc, exec
.LBB4_584:                              ;   in Loop: Header=BB4_518 Depth=1
	s_or_b64 exec, exec, s[14:15]
	s_and_saveexec_b64 s[14:15], s[12:13]
	s_cbranch_execz .LBB4_586
; %bb.585:                              ;   in Loop: Header=BB4_518 Depth=1
	ds_read_b32 v2, v0 offset:784
	s_waitcnt lgkmcnt(0)
	v_and_b32_e32 v2, 15, v2
	v_cmp_eq_u32_e32 vcc, 0, v2
	s_and_b64 s[18:19], s[16:17], vcc
	s_andn2_b64 s[16:17], s[16:17], exec
	s_and_b64 s[18:19], s[18:19], exec
	s_or_b64 s[16:17], s[16:17], s[18:19]
.LBB4_586:                              ;   in Loop: Header=BB4_518 Depth=1
	s_or_b64 exec, exec, s[14:15]
	v_cmp_eq_u32_e32 vcc, 0, v0
	s_xor_b64 s[16:17], s[16:17], -1
	v_cndmask_b32_e64 v0, 0, 1, s[16:17]
	v_cndmask_b32_e32 v2, 0, v60, vcc
	v_lshlrev_b32_e32 v59, 1, v2
	s_mov_b64 s[14:15], -1
	;;#ASMSTART
	;;#ASMEND
	s_nop 0
	v_cmp_ne_u32_e32 vcc, 0, v0
	s_cbranch_vccz .LBB4_664
; %bb.587:                              ;   in Loop: Header=BB4_518 Depth=1
	s_trap 2
	ds_read_b64 a[28:29], v0
	s_mov_b64 s[46:47], -1
	s_mov_b32 s16, 0
	s_cbranch_execnz .LBB4_665
.LBB4_588:                              ;   in Loop: Header=BB4_518 Depth=1
	v_lshrrev_b32_e32 v0, 9, v2
	s_trap 2
	ds_read_b128 v[44:47], v0
	ds_read_b64 v[12:13], v0
	v_lshlrev_b32_e32 v40, 10, v0
	v_sub_u32_e32 v41, v59, v40
	v_accvgpr_read_b32 v10, a16
	v_accvgpr_write_b32 a26, v2
	v_cmp_lt_i32_e64 s[14:15], 15, v41
	v_accvgpr_read_b32 v2, a14
	v_accvgpr_read_b32 v11, a17
	v_sub_u32_e32 v61, v59, v10
	v_addc_co_u32_e64 v24, vcc, v0, v2, s[14:15]
	s_waitcnt lgkmcnt(0)
	v_accvgpr_write_b32 a29, v13
	v_accvgpr_write_b32 a28, v12
	v_lshl_add_u64 v[28:29], v[12:13], 0, v[10:11]
	v_cmp_lt_i32_e32 vcc, 15, v61
	s_mov_b64 s[18:19], 0
	s_and_saveexec_b64 s[48:49], vcc
	s_cbranch_execz .LBB4_667
; %bb.589:                              ;   in Loop: Header=BB4_518 Depth=1
	v_accvgpr_read_b32 v2, a16
	v_accvgpr_read_b32 v3, a17
	v_lshl_add_u64 v[48:49], v[44:45], 0, v[2:3]
	v_lshl_add_u64 v[26:27], v[46:47], 0, v[2:3]
	s_mov_b64 s[54:55], 0
	s_mov_b64 s[50:51], 0
                                        ; implicit-def: $sgpr52_sgpr53
	s_branch .LBB4_591
.LBB4_590:                              ;   in Loop: Header=BB4_591 Depth=2
	s_or_b64 exec, exec, s[16:17]
	v_cmp_gt_i32_e32 vcc, 16, v61
	s_or_b64 s[50:51], vcc, s[50:51]
	s_andn2_b64 s[16:17], s[52:53], exec
	s_and_b64 s[18:19], s[54:55], exec
	s_or_b64 s[52:53], s[16:17], s[18:19]
	s_andn2_b64 exec, exec, s[50:51]
	s_cbranch_execz .LBB4_666
.LBB4_591:                              ;   Parent Loop BB4_518 Depth=1
                                        ; =>  This Loop Header: Depth=2
                                        ;       Child Loop BB4_592 Depth 3
                                        ;       Child Loop BB4_629 Depth 3
	s_add_i32 s16, s33, 64
	v_mov_b32_e32 v0, s16
	s_mov_b64 s[56:57], -1
	s_mov_b64 s[58:59], 0
.LBB4_592:                              ;   Parent Loop BB4_518 Depth=1
                                        ;     Parent Loop BB4_591 Depth=2
                                        ; =>    This Inner Loop Header: Depth=3
	s_cmp_eq_u32 s58, 1
	s_cselect_b64 vcc, -1, 0
	v_cndmask_b32_e32 v3, v49, v27, vcc
	v_cndmask_b32_e32 v2, v48, v26, vcc
	global_load_dwordx4 v[14:17], v[2:3], off nt
	s_cmp_eq_u32 s58, 0
	v_lshl_add_u64 v[2:3], v[2:3], 0, s[30:31]
	s_cselect_b64 s[16:17], -1, 0
	s_and_b64 s[18:19], exec, s[56:57]
	s_mov_b64 s[58:59], 1
	s_mov_b64 s[56:57], 0
	v_cndmask_b32_e64 v49, v49, v3, s[16:17]
	v_cndmask_b32_e64 v48, v48, v2, s[16:17]
	v_cndmask_b32_e32 v27, v27, v3, vcc
	v_cndmask_b32_e32 v26, v26, v2, vcc
	s_mov_b64 vcc, s[18:19]
	s_waitcnt vmcnt(0)
	scratch_store_dwordx4 v0, v[14:17], off
	v_mov_b32_e32 v0, v31
	s_cbranch_vccnz .LBB4_592
; %bb.593:                              ;   in Loop: Header=BB4_591 Depth=2
	s_and_saveexec_b64 s[16:17], s[54:55]
	s_cbranch_execz .LBB4_627
; %bb.594:                              ;   in Loop: Header=BB4_591 Depth=2
	scratch_load_dwordx4 v[14:17], off, s33 offset:112
	scratch_load_dwordx4 v[18:21], off, s33 offset:96
	s_waitcnt vmcnt(1)
	v_lshlrev_b32_e32 v0, 16, v14
	s_waitcnt vmcnt(0)
	v_lshlrev_b32_e32 v2, 16, v18
	v_pk_mul_f32 v[2:3], v[0:1], v[2:3] op_sel_hi:[0,1]
	v_and_b32_e32 v0, 0x7f800000, v2
	v_cmp_ne_u32_e32 vcc, s66, v0
                                        ; implicit-def: $vgpr0
	s_and_saveexec_b64 s[18:19], vcc
	s_xor_b64 s[18:19], exec, s[18:19]
; %bb.595:                              ;   in Loop: Header=BB4_591 Depth=2
	v_bfe_u32 v0, v2, 16, 1
	v_add3_u32 v0, v2, v0, s67
                                        ; implicit-def: $vgpr2_vgpr3
; %bb.596:                              ;   in Loop: Header=BB4_591 Depth=2
	s_andn2_saveexec_b64 s[18:19], s[18:19]
; %bb.597:                              ;   in Loop: Header=BB4_591 Depth=2
	v_or_b32_e32 v0, 0x10000, v2
	v_cmp_eq_u32_sdwa vcc, v2, v25 src0_sel:WORD_0 src1_sel:DWORD
	s_nop 1
	v_cndmask_b32_e32 v0, v0, v2, vcc
; %bb.598:                              ;   in Loop: Header=BB4_591 Depth=2
	s_or_b64 exec, exec, s[18:19]
	v_and_b32_e32 v2, 0xffff0000, v14
	v_and_b32_e32 v10, 0xffff0000, v18
	v_pk_mul_f32 v[2:3], v[2:3], v[10:11] op_sel_hi:[0,1]
	v_and_b32_e32 v3, 0x7f800000, v2
	v_cmp_ne_u32_e32 vcc, s66, v3
                                        ; implicit-def: $vgpr18
	s_and_saveexec_b64 s[18:19], vcc
	s_xor_b64 s[18:19], exec, s[18:19]
; %bb.599:                              ;   in Loop: Header=BB4_591 Depth=2
	v_bfe_u32 v3, v2, 16, 1
	v_add3_u32 v18, v2, v3, s67
                                        ; implicit-def: $vgpr2_vgpr3
; %bb.600:                              ;   in Loop: Header=BB4_591 Depth=2
	s_andn2_saveexec_b64 s[18:19], s[18:19]
; %bb.601:                              ;   in Loop: Header=BB4_591 Depth=2
	v_or_b32_e32 v3, 0x10000, v2
	v_cmp_eq_u32_sdwa vcc, v2, v25 src0_sel:WORD_0 src1_sel:DWORD
	s_nop 1
	v_cndmask_b32_e32 v18, v3, v2, vcc
; %bb.602:                              ;   in Loop: Header=BB4_591 Depth=2
	s_or_b64 exec, exec, s[18:19]
	v_mov_b32_e32 v3, v15
	v_lshlrev_b32_e32 v2, 16, v3
	v_lshlrev_b32_e32 v10, 16, v19
	v_pk_mul_f32 v[14:15], v[2:3], v[10:11] op_sel_hi:[0,1]
	v_and_b32_e32 v2, 0x7f800000, v14
	v_cmp_ne_u32_e32 vcc, s66, v2
                                        ; implicit-def: $vgpr54
	s_and_saveexec_b64 s[18:19], vcc
	s_xor_b64 s[18:19], exec, s[18:19]
; %bb.603:                              ;   in Loop: Header=BB4_591 Depth=2
	v_bfe_u32 v2, v14, 16, 1
	v_add3_u32 v54, v14, v2, s67
                                        ; implicit-def: $vgpr14_vgpr15
; %bb.604:                              ;   in Loop: Header=BB4_591 Depth=2
	s_andn2_saveexec_b64 s[18:19], s[18:19]
; %bb.605:                              ;   in Loop: Header=BB4_591 Depth=2
	v_or_b32_e32 v2, 0x10000, v14
	v_cmp_eq_u32_sdwa vcc, v14, v25 src0_sel:WORD_0 src1_sel:DWORD
	s_nop 1
	v_cndmask_b32_e32 v54, v2, v14, vcc
; %bb.606:                              ;   in Loop: Header=BB4_591 Depth=2
	s_or_b64 exec, exec, s[18:19]
	v_and_b32_e32 v2, 0xffff0000, v3
	v_and_b32_e32 v10, 0xffff0000, v19
	v_pk_mul_f32 v[2:3], v[2:3], v[10:11] op_sel_hi:[0,1]
	v_and_b32_e32 v3, 0x7f800000, v2
	v_cmp_ne_u32_e32 vcc, s66, v3
                                        ; implicit-def: $vgpr19
	s_and_saveexec_b64 s[18:19], vcc
	s_xor_b64 s[18:19], exec, s[18:19]
; %bb.607:                              ;   in Loop: Header=BB4_591 Depth=2
	v_bfe_u32 v3, v2, 16, 1
	v_add3_u32 v19, v2, v3, s67
                                        ; implicit-def: $vgpr2_vgpr3
; %bb.608:                              ;   in Loop: Header=BB4_591 Depth=2
	s_andn2_saveexec_b64 s[18:19], s[18:19]
; %bb.609:                              ;   in Loop: Header=BB4_591 Depth=2
	v_or_b32_e32 v3, 0x10000, v2
	v_cmp_eq_u32_sdwa vcc, v2, v25 src0_sel:WORD_0 src1_sel:DWORD
	s_nop 1
	v_cndmask_b32_e32 v19, v3, v2, vcc
; %bb.610:                              ;   in Loop: Header=BB4_591 Depth=2
	s_or_b64 exec, exec, s[18:19]
	v_lshlrev_b32_e32 v2, 16, v16
	v_lshlrev_b32_e32 v10, 16, v20
	v_pk_mul_f32 v[2:3], v[2:3], v[10:11] op_sel_hi:[0,1]
	v_and_b32_e32 v3, 0x7f800000, v2
	v_cmp_ne_u32_e32 vcc, s66, v3
                                        ; implicit-def: $vgpr55
	s_and_saveexec_b64 s[18:19], vcc
	s_xor_b64 s[18:19], exec, s[18:19]
; %bb.611:                              ;   in Loop: Header=BB4_591 Depth=2
	v_bfe_u32 v3, v2, 16, 1
	v_add3_u32 v55, v2, v3, s67
                                        ; implicit-def: $vgpr2_vgpr3
; %bb.612:                              ;   in Loop: Header=BB4_591 Depth=2
	s_andn2_saveexec_b64 s[18:19], s[18:19]
; %bb.613:                              ;   in Loop: Header=BB4_591 Depth=2
	v_or_b32_e32 v3, 0x10000, v2
	v_cmp_eq_u32_sdwa vcc, v2, v25 src0_sel:WORD_0 src1_sel:DWORD
	s_nop 1
	v_cndmask_b32_e32 v55, v3, v2, vcc
; %bb.614:                              ;   in Loop: Header=BB4_591 Depth=2
	s_or_b64 exec, exec, s[18:19]
	v_and_b32_e32 v2, 0xffff0000, v16
	v_and_b32_e32 v10, 0xffff0000, v20
	v_pk_mul_f32 v[2:3], v[2:3], v[10:11] op_sel_hi:[0,1]
	v_and_b32_e32 v3, 0x7f800000, v2
	v_cmp_ne_u32_e32 vcc, s66, v3
                                        ; implicit-def: $vgpr16
	s_and_saveexec_b64 s[18:19], vcc
	s_xor_b64 s[18:19], exec, s[18:19]
; %bb.615:                              ;   in Loop: Header=BB4_591 Depth=2
	v_bfe_u32 v3, v2, 16, 1
	v_add3_u32 v16, v2, v3, s67
                                        ; implicit-def: $vgpr2_vgpr3
; %bb.616:                              ;   in Loop: Header=BB4_591 Depth=2
	s_andn2_saveexec_b64 s[18:19], s[18:19]
; %bb.617:                              ;   in Loop: Header=BB4_591 Depth=2
	v_or_b32_e32 v3, 0x10000, v2
	v_cmp_eq_u32_sdwa vcc, v2, v25 src0_sel:WORD_0 src1_sel:DWORD
	s_nop 1
	v_cndmask_b32_e32 v16, v3, v2, vcc
; %bb.618:                              ;   in Loop: Header=BB4_591 Depth=2
	s_or_b64 exec, exec, s[18:19]
	v_mov_b32_e32 v3, v21
	v_lshlrev_b32_e32 v2, 16, v17
	v_lshlrev_b32_e32 v10, 16, v3
	v_pk_mul_f32 v[14:15], v[2:3], v[10:11] op_sel_hi:[0,1]
	v_and_b32_e32 v2, 0x7f800000, v14
	v_cmp_ne_u32_e32 vcc, s66, v2
                                        ; implicit-def: $vgpr20
	s_and_saveexec_b64 s[18:19], vcc
	s_xor_b64 s[18:19], exec, s[18:19]
; %bb.619:                              ;   in Loop: Header=BB4_591 Depth=2
	v_bfe_u32 v2, v14, 16, 1
	v_add3_u32 v20, v14, v2, s67
                                        ; implicit-def: $vgpr14_vgpr15
; %bb.620:                              ;   in Loop: Header=BB4_591 Depth=2
	s_andn2_saveexec_b64 s[18:19], s[18:19]
; %bb.621:                              ;   in Loop: Header=BB4_591 Depth=2
	v_or_b32_e32 v2, 0x10000, v14
	v_cmp_eq_u32_sdwa vcc, v14, v25 src0_sel:WORD_0 src1_sel:DWORD
	s_nop 1
	v_cndmask_b32_e32 v20, v2, v14, vcc
; %bb.622:                              ;   in Loop: Header=BB4_591 Depth=2
	s_or_b64 exec, exec, s[18:19]
	v_and_b32_e32 v2, 0xffff0000, v17
	v_and_b32_e32 v10, 0xffff0000, v3
	v_pk_mul_f32 v[2:3], v[2:3], v[10:11] op_sel_hi:[0,1]
	v_and_b32_e32 v3, 0x7f800000, v2
	v_cmp_ne_u32_e32 vcc, s66, v3
                                        ; implicit-def: $vgpr14
	s_and_saveexec_b64 s[18:19], vcc
	s_xor_b64 s[18:19], exec, s[18:19]
; %bb.623:                              ;   in Loop: Header=BB4_591 Depth=2
	v_bfe_u32 v3, v2, 16, 1
	v_add3_u32 v14, v2, v3, s67
                                        ; implicit-def: $vgpr2_vgpr3
; %bb.624:                              ;   in Loop: Header=BB4_591 Depth=2
	s_andn2_saveexec_b64 s[18:19], s[18:19]
; %bb.625:                              ;   in Loop: Header=BB4_591 Depth=2
	v_or_b32_e32 v3, 0x10000, v2
	v_cmp_eq_u32_sdwa vcc, v2, v25 src0_sel:WORD_0 src1_sel:DWORD
	s_nop 1
	v_cndmask_b32_e32 v14, v3, v2, vcc
; %bb.626:                              ;   in Loop: Header=BB4_591 Depth=2
	s_or_b64 exec, exec, s[18:19]
	v_lshrrev_b32_e32 v0, 16, v0
	v_lshrrev_b32_e32 v2, 16, v54
	v_and_or_b32 v10, v18, s69, v0
	v_lshrrev_b32_e32 v0, 16, v55
	v_and_or_b32 v11, v19, s69, v2
	v_and_or_b32 v12, v16, s69, v0
	v_lshrrev_b32_e32 v0, 16, v20
	v_accvgpr_read_b32 v2, a18
	v_and_or_b32 v13, v14, s69, v0
	v_accvgpr_read_b32 v3, a19
	scratch_store_dwordx4 off, v[10:13], s33 offset:96
	global_store_dwordx4 v[28:29], v[10:13], off nt
	v_lshl_add_u64 v[28:29], v[2:3], 0, v[28:29]
.LBB4_627:                              ;   in Loop: Header=BB4_591 Depth=2
	s_or_b64 exec, exec, s[16:17]
	v_sub_u32_e32 v61, v61, v36
	v_lshl_add_u64 v[48:49], v[48:49], 0, v[52:53]
	v_lshl_add_u64 v[26:27], v[26:27], 0, v[52:53]
	v_cmp_lt_i32_e64 s[54:55], 15, v61
	s_and_saveexec_b64 s[56:57], s[54:55]
	s_cbranch_execz .LBB4_630
; %bb.628:                              ;   in Loop: Header=BB4_591 Depth=2
	s_add_i32 s16, s33, 0x60
	v_mov_b32_e32 v0, s16
	s_mov_b64 s[60:61], 0
	s_mov_b64 s[58:59], -1
.LBB4_629:                              ;   Parent Loop BB4_518 Depth=1
                                        ;     Parent Loop BB4_591 Depth=2
                                        ; =>    This Inner Loop Header: Depth=3
	s_cmp_eq_u32 s60, 1
	s_cselect_b64 vcc, -1, 0
	v_cndmask_b32_e32 v3, v49, v27, vcc
	v_cndmask_b32_e32 v2, v48, v26, vcc
	global_load_dwordx4 v[10:13], v[2:3], off nt
	s_cmp_eq_u32 s60, 0
	v_lshl_add_u64 v[2:3], v[2:3], 0, s[30:31]
	s_cselect_b64 s[16:17], -1, 0
	s_and_b64 s[18:19], exec, s[58:59]
	s_mov_b64 s[60:61], 1
	s_mov_b64 s[58:59], 0
	v_cndmask_b32_e64 v49, v49, v3, s[16:17]
	v_cndmask_b32_e64 v48, v48, v2, s[16:17]
	v_cndmask_b32_e32 v27, v27, v3, vcc
	v_cndmask_b32_e32 v26, v26, v2, vcc
	s_mov_b64 vcc, s[18:19]
	s_waitcnt vmcnt(0)
	scratch_store_dwordx4 v0, v[10:13], off
	v_mov_b32_e32 v0, v30
	s_cbranch_vccnz .LBB4_629
.LBB4_630:                              ;   in Loop: Header=BB4_591 Depth=2
	s_or_b64 exec, exec, s[56:57]
	scratch_load_dwordx4 v[14:17], off, s33 offset:80
	scratch_load_dwordx4 v[18:21], off, s33 offset:64
	s_waitcnt vmcnt(1)
	v_lshlrev_b32_e32 v0, 16, v14
	s_waitcnt vmcnt(0)
	v_lshlrev_b32_e32 v2, 16, v18
	v_pk_mul_f32 v[2:3], v[0:1], v[2:3] op_sel_hi:[0,1]
	v_and_b32_e32 v0, 0x7f800000, v2
	v_cmp_ne_u32_e32 vcc, s66, v0
                                        ; implicit-def: $vgpr0
	s_and_saveexec_b64 s[16:17], vcc
	s_xor_b64 s[16:17], exec, s[16:17]
; %bb.631:                              ;   in Loop: Header=BB4_591 Depth=2
	v_bfe_u32 v0, v2, 16, 1
	v_add3_u32 v0, v2, v0, s67
                                        ; implicit-def: $vgpr2_vgpr3
; %bb.632:                              ;   in Loop: Header=BB4_591 Depth=2
	s_andn2_saveexec_b64 s[16:17], s[16:17]
; %bb.633:                              ;   in Loop: Header=BB4_591 Depth=2
	v_or_b32_e32 v0, 0x10000, v2
	v_cmp_eq_u32_sdwa vcc, v2, v25 src0_sel:WORD_0 src1_sel:DWORD
	s_nop 1
	v_cndmask_b32_e32 v0, v0, v2, vcc
; %bb.634:                              ;   in Loop: Header=BB4_591 Depth=2
	s_or_b64 exec, exec, s[16:17]
	v_and_b32_e32 v2, 0xffff0000, v14
	v_and_b32_e32 v10, 0xffff0000, v18
	v_pk_mul_f32 v[2:3], v[2:3], v[10:11] op_sel_hi:[0,1]
	v_and_b32_e32 v3, 0x7f800000, v2
	v_cmp_ne_u32_e32 vcc, s66, v3
                                        ; implicit-def: $vgpr18
	s_and_saveexec_b64 s[16:17], vcc
	s_xor_b64 s[16:17], exec, s[16:17]
; %bb.635:                              ;   in Loop: Header=BB4_591 Depth=2
	v_bfe_u32 v3, v2, 16, 1
	v_add3_u32 v18, v2, v3, s67
                                        ; implicit-def: $vgpr2_vgpr3
; %bb.636:                              ;   in Loop: Header=BB4_591 Depth=2
	s_andn2_saveexec_b64 s[16:17], s[16:17]
; %bb.637:                              ;   in Loop: Header=BB4_591 Depth=2
	v_or_b32_e32 v3, 0x10000, v2
	v_cmp_eq_u32_sdwa vcc, v2, v25 src0_sel:WORD_0 src1_sel:DWORD
	s_nop 1
	v_cndmask_b32_e32 v18, v3, v2, vcc
; %bb.638:                              ;   in Loop: Header=BB4_591 Depth=2
	s_or_b64 exec, exec, s[16:17]
	v_mov_b32_e32 v3, v15
	v_lshlrev_b32_e32 v2, 16, v3
	v_lshlrev_b32_e32 v10, 16, v19
	v_pk_mul_f32 v[14:15], v[2:3], v[10:11] op_sel_hi:[0,1]
	v_and_b32_e32 v2, 0x7f800000, v14
	v_cmp_ne_u32_e32 vcc, s66, v2
                                        ; implicit-def: $vgpr54
	s_and_saveexec_b64 s[16:17], vcc
	s_xor_b64 s[16:17], exec, s[16:17]
; %bb.639:                              ;   in Loop: Header=BB4_591 Depth=2
	v_bfe_u32 v2, v14, 16, 1
	v_add3_u32 v54, v14, v2, s67
                                        ; implicit-def: $vgpr14_vgpr15
; %bb.640:                              ;   in Loop: Header=BB4_591 Depth=2
	s_andn2_saveexec_b64 s[16:17], s[16:17]
; %bb.641:                              ;   in Loop: Header=BB4_591 Depth=2
	v_or_b32_e32 v2, 0x10000, v14
	v_cmp_eq_u32_sdwa vcc, v14, v25 src0_sel:WORD_0 src1_sel:DWORD
	s_nop 1
	v_cndmask_b32_e32 v54, v2, v14, vcc
; %bb.642:                              ;   in Loop: Header=BB4_591 Depth=2
	s_or_b64 exec, exec, s[16:17]
	v_and_b32_e32 v2, 0xffff0000, v3
	v_and_b32_e32 v10, 0xffff0000, v19
	v_pk_mul_f32 v[2:3], v[2:3], v[10:11] op_sel_hi:[0,1]
	v_and_b32_e32 v3, 0x7f800000, v2
	v_cmp_ne_u32_e32 vcc, s66, v3
                                        ; implicit-def: $vgpr19
	s_and_saveexec_b64 s[16:17], vcc
	s_xor_b64 s[16:17], exec, s[16:17]
; %bb.643:                              ;   in Loop: Header=BB4_591 Depth=2
	v_bfe_u32 v3, v2, 16, 1
	v_add3_u32 v19, v2, v3, s67
                                        ; implicit-def: $vgpr2_vgpr3
; %bb.644:                              ;   in Loop: Header=BB4_591 Depth=2
	s_andn2_saveexec_b64 s[16:17], s[16:17]
; %bb.645:                              ;   in Loop: Header=BB4_591 Depth=2
	v_or_b32_e32 v3, 0x10000, v2
	v_cmp_eq_u32_sdwa vcc, v2, v25 src0_sel:WORD_0 src1_sel:DWORD
	s_nop 1
	v_cndmask_b32_e32 v19, v3, v2, vcc
; %bb.646:                              ;   in Loop: Header=BB4_591 Depth=2
	s_or_b64 exec, exec, s[16:17]
	v_lshlrev_b32_e32 v2, 16, v16
	v_lshlrev_b32_e32 v10, 16, v20
	v_pk_mul_f32 v[2:3], v[2:3], v[10:11] op_sel_hi:[0,1]
	v_and_b32_e32 v3, 0x7f800000, v2
	v_cmp_ne_u32_e32 vcc, s66, v3
                                        ; implicit-def: $vgpr55
	s_and_saveexec_b64 s[16:17], vcc
	s_xor_b64 s[16:17], exec, s[16:17]
; %bb.647:                              ;   in Loop: Header=BB4_591 Depth=2
	v_bfe_u32 v3, v2, 16, 1
	v_add3_u32 v55, v2, v3, s67
                                        ; implicit-def: $vgpr2_vgpr3
; %bb.648:                              ;   in Loop: Header=BB4_591 Depth=2
	s_andn2_saveexec_b64 s[16:17], s[16:17]
; %bb.649:                              ;   in Loop: Header=BB4_591 Depth=2
	v_or_b32_e32 v3, 0x10000, v2
	v_cmp_eq_u32_sdwa vcc, v2, v25 src0_sel:WORD_0 src1_sel:DWORD
	s_nop 1
	v_cndmask_b32_e32 v55, v3, v2, vcc
; %bb.650:                              ;   in Loop: Header=BB4_591 Depth=2
	s_or_b64 exec, exec, s[16:17]
	v_and_b32_e32 v2, 0xffff0000, v16
	v_and_b32_e32 v10, 0xffff0000, v20
	v_pk_mul_f32 v[2:3], v[2:3], v[10:11] op_sel_hi:[0,1]
	v_and_b32_e32 v3, 0x7f800000, v2
	v_cmp_ne_u32_e32 vcc, s66, v3
                                        ; implicit-def: $vgpr16
	s_and_saveexec_b64 s[16:17], vcc
	s_xor_b64 s[16:17], exec, s[16:17]
; %bb.651:                              ;   in Loop: Header=BB4_591 Depth=2
	v_bfe_u32 v3, v2, 16, 1
	v_add3_u32 v16, v2, v3, s67
                                        ; implicit-def: $vgpr2_vgpr3
; %bb.652:                              ;   in Loop: Header=BB4_591 Depth=2
	s_andn2_saveexec_b64 s[16:17], s[16:17]
; %bb.653:                              ;   in Loop: Header=BB4_591 Depth=2
	v_or_b32_e32 v3, 0x10000, v2
	v_cmp_eq_u32_sdwa vcc, v2, v25 src0_sel:WORD_0 src1_sel:DWORD
	s_nop 1
	v_cndmask_b32_e32 v16, v3, v2, vcc
; %bb.654:                              ;   in Loop: Header=BB4_591 Depth=2
	s_or_b64 exec, exec, s[16:17]
	v_mov_b32_e32 v3, v21
	v_lshlrev_b32_e32 v2, 16, v17
	v_lshlrev_b32_e32 v10, 16, v3
	v_pk_mul_f32 v[14:15], v[2:3], v[10:11] op_sel_hi:[0,1]
	v_and_b32_e32 v2, 0x7f800000, v14
	v_cmp_ne_u32_e32 vcc, s66, v2
                                        ; implicit-def: $vgpr20
	s_and_saveexec_b64 s[16:17], vcc
	s_xor_b64 s[16:17], exec, s[16:17]
; %bb.655:                              ;   in Loop: Header=BB4_591 Depth=2
	v_bfe_u32 v2, v14, 16, 1
	v_add3_u32 v20, v14, v2, s67
                                        ; implicit-def: $vgpr14_vgpr15
; %bb.656:                              ;   in Loop: Header=BB4_591 Depth=2
	s_andn2_saveexec_b64 s[16:17], s[16:17]
; %bb.657:                              ;   in Loop: Header=BB4_591 Depth=2
	v_or_b32_e32 v2, 0x10000, v14
	v_cmp_eq_u32_sdwa vcc, v14, v25 src0_sel:WORD_0 src1_sel:DWORD
	s_nop 1
	v_cndmask_b32_e32 v20, v2, v14, vcc
; %bb.658:                              ;   in Loop: Header=BB4_591 Depth=2
	s_or_b64 exec, exec, s[16:17]
	v_and_b32_e32 v2, 0xffff0000, v17
	v_and_b32_e32 v10, 0xffff0000, v3
	v_pk_mul_f32 v[2:3], v[2:3], v[10:11] op_sel_hi:[0,1]
	v_and_b32_e32 v3, 0x7f800000, v2
	v_cmp_ne_u32_e32 vcc, s66, v3
                                        ; implicit-def: $vgpr14
	s_and_saveexec_b64 s[16:17], vcc
	s_xor_b64 s[16:17], exec, s[16:17]
; %bb.659:                              ;   in Loop: Header=BB4_591 Depth=2
	v_bfe_u32 v3, v2, 16, 1
	v_add3_u32 v14, v2, v3, s67
                                        ; implicit-def: $vgpr2_vgpr3
; %bb.660:                              ;   in Loop: Header=BB4_591 Depth=2
	s_andn2_saveexec_b64 s[16:17], s[16:17]
; %bb.661:                              ;   in Loop: Header=BB4_591 Depth=2
	v_or_b32_e32 v3, 0x10000, v2
	v_cmp_eq_u32_sdwa vcc, v2, v25 src0_sel:WORD_0 src1_sel:DWORD
	s_nop 1
	v_cndmask_b32_e32 v14, v3, v2, vcc
; %bb.662:                              ;   in Loop: Header=BB4_591 Depth=2
	s_or_b64 exec, exec, s[16:17]
	v_lshrrev_b32_e32 v0, 16, v0
	v_and_or_b32 v10, v18, s69, v0
	v_lshrrev_b32_e32 v0, 16, v55
	v_lshrrev_b32_e32 v2, 16, v54
	v_and_or_b32 v12, v16, s69, v0
	v_lshrrev_b32_e32 v0, 16, v20
	v_and_or_b32 v11, v19, s69, v2
	v_and_or_b32 v13, v14, s69, v0
	v_sub_u32_e32 v24, v24, v22
	scratch_store_dwordx4 off, v[10:13], s33 offset:64
	global_store_dwordx4 v[28:29], v[10:13], off nt
	v_lshl_add_u64 v[28:29], v[28:29], 0, s[30:31]
	s_and_saveexec_b64 s[16:17], s[54:55]
	s_cbranch_execz .LBB4_590
; %bb.663:                              ;   in Loop: Header=BB4_591 Depth=2
	v_lshl_add_u64 v[48:49], v[48:49], 0, v[52:53]
	v_lshl_add_u64 v[26:27], v[26:27], 0, v[52:53]
	;; [unrolled: 1-line block ×3, first 2 shown]
	v_sub_u32_e32 v61, v61, v36
	v_sub_u32_e32 v24, v24, v22
	s_branch .LBB4_590
.LBB4_664:                              ;   in Loop: Header=BB4_518 Depth=1
	s_mov_b64 s[46:47], 0
                                        ; implicit-def: $sgpr16
                                        ; implicit-def: $agpr28_agpr29
	s_andn2_b64 vcc, exec, s[14:15]
	s_cbranch_vccz .LBB4_588
.LBB4_665:                              ;   in Loop: Header=BB4_518 Depth=1
	v_mov_b32_e32 v16, s16
	v_accvgpr_write_b32 a26, v2
	v_accvgpr_read_b32 v0, a9
	v_accvgpr_read_b32 v17, a11
	s_and_saveexec_b64 s[18:19], s[46:47]
	s_cbranch_execnz .LBB4_817
	s_branch .LBB4_901
.LBB4_666:                              ;   in Loop: Header=BB4_518 Depth=1
	s_or_b64 exec, exec, s[50:51]
	s_and_b64 s[18:19], s[52:53], exec
.LBB4_667:                              ;   in Loop: Header=BB4_518 Depth=1
	s_or_b64 exec, exec, s[48:49]
	s_and_saveexec_b64 s[16:17], s[18:19]
	s_cbranch_execz .LBB4_701
; %bb.668:                              ;   in Loop: Header=BB4_518 Depth=1
	scratch_load_dwordx4 v[14:17], off, s33 offset:112
	scratch_load_dwordx4 v[18:21], off, s33 offset:96
	s_waitcnt vmcnt(0)
	v_lshlrev_b32_e32 v0, 16, v14
	v_lshlrev_b32_e32 v2, 16, v18
	v_pk_mul_f32 v[2:3], v[0:1], v[2:3] op_sel_hi:[0,1]
	v_and_b32_e32 v0, 0x7f800000, v2
	v_cmp_ne_u32_e32 vcc, s66, v0
                                        ; implicit-def: $vgpr0
	s_and_saveexec_b64 s[18:19], vcc
	s_xor_b64 s[18:19], exec, s[18:19]
; %bb.669:                              ;   in Loop: Header=BB4_518 Depth=1
	v_bfe_u32 v0, v2, 16, 1
	v_add3_u32 v0, v2, v0, s67
                                        ; implicit-def: $vgpr2_vgpr3
; %bb.670:                              ;   in Loop: Header=BB4_518 Depth=1
	s_andn2_saveexec_b64 s[18:19], s[18:19]
; %bb.671:                              ;   in Loop: Header=BB4_518 Depth=1
	v_or_b32_e32 v0, 0x10000, v2
	v_cmp_eq_u32_sdwa vcc, v2, v25 src0_sel:WORD_0 src1_sel:DWORD
	s_nop 1
	v_cndmask_b32_e32 v0, v0, v2, vcc
; %bb.672:                              ;   in Loop: Header=BB4_518 Depth=1
	s_or_b64 exec, exec, s[18:19]
	v_and_b32_e32 v2, 0xffff0000, v14
	v_and_b32_e32 v10, 0xffff0000, v18
	v_pk_mul_f32 v[2:3], v[2:3], v[10:11] op_sel_hi:[0,1]
	v_and_b32_e32 v3, 0x7f800000, v2
	v_cmp_ne_u32_e32 vcc, s66, v3
                                        ; implicit-def: $vgpr18
	s_and_saveexec_b64 s[18:19], vcc
	s_xor_b64 s[18:19], exec, s[18:19]
; %bb.673:                              ;   in Loop: Header=BB4_518 Depth=1
	v_bfe_u32 v3, v2, 16, 1
	v_add3_u32 v18, v2, v3, s67
                                        ; implicit-def: $vgpr2_vgpr3
; %bb.674:                              ;   in Loop: Header=BB4_518 Depth=1
	s_andn2_saveexec_b64 s[18:19], s[18:19]
; %bb.675:                              ;   in Loop: Header=BB4_518 Depth=1
	v_or_b32_e32 v3, 0x10000, v2
	v_cmp_eq_u32_sdwa vcc, v2, v25 src0_sel:WORD_0 src1_sel:DWORD
	s_nop 1
	v_cndmask_b32_e32 v18, v3, v2, vcc
; %bb.676:                              ;   in Loop: Header=BB4_518 Depth=1
	s_or_b64 exec, exec, s[18:19]
	v_mov_b32_e32 v3, v15
	v_lshlrev_b32_e32 v2, 16, v3
	v_lshlrev_b32_e32 v10, 16, v19
	v_pk_mul_f32 v[14:15], v[2:3], v[10:11] op_sel_hi:[0,1]
	v_and_b32_e32 v2, 0x7f800000, v14
	v_cmp_ne_u32_e32 vcc, s66, v2
                                        ; implicit-def: $vgpr26
	s_and_saveexec_b64 s[18:19], vcc
	s_xor_b64 s[18:19], exec, s[18:19]
; %bb.677:                              ;   in Loop: Header=BB4_518 Depth=1
	v_bfe_u32 v2, v14, 16, 1
	v_add3_u32 v26, v14, v2, s67
                                        ; implicit-def: $vgpr14_vgpr15
; %bb.678:                              ;   in Loop: Header=BB4_518 Depth=1
	s_andn2_saveexec_b64 s[18:19], s[18:19]
; %bb.679:                              ;   in Loop: Header=BB4_518 Depth=1
	v_or_b32_e32 v2, 0x10000, v14
	v_cmp_eq_u32_sdwa vcc, v14, v25 src0_sel:WORD_0 src1_sel:DWORD
	s_nop 1
	v_cndmask_b32_e32 v26, v2, v14, vcc
; %bb.680:                              ;   in Loop: Header=BB4_518 Depth=1
	s_or_b64 exec, exec, s[18:19]
	v_and_b32_e32 v2, 0xffff0000, v3
	v_and_b32_e32 v10, 0xffff0000, v19
	v_pk_mul_f32 v[2:3], v[2:3], v[10:11] op_sel_hi:[0,1]
	v_and_b32_e32 v3, 0x7f800000, v2
	v_cmp_ne_u32_e32 vcc, s66, v3
                                        ; implicit-def: $vgpr19
	s_and_saveexec_b64 s[18:19], vcc
	s_xor_b64 s[18:19], exec, s[18:19]
; %bb.681:                              ;   in Loop: Header=BB4_518 Depth=1
	v_bfe_u32 v3, v2, 16, 1
	v_add3_u32 v19, v2, v3, s67
                                        ; implicit-def: $vgpr2_vgpr3
; %bb.682:                              ;   in Loop: Header=BB4_518 Depth=1
	s_andn2_saveexec_b64 s[18:19], s[18:19]
; %bb.683:                              ;   in Loop: Header=BB4_518 Depth=1
	v_or_b32_e32 v3, 0x10000, v2
	v_cmp_eq_u32_sdwa vcc, v2, v25 src0_sel:WORD_0 src1_sel:DWORD
	s_nop 1
	v_cndmask_b32_e32 v19, v3, v2, vcc
; %bb.684:                              ;   in Loop: Header=BB4_518 Depth=1
	s_or_b64 exec, exec, s[18:19]
	v_lshlrev_b32_e32 v2, 16, v16
	v_lshlrev_b32_e32 v10, 16, v20
	v_pk_mul_f32 v[2:3], v[2:3], v[10:11] op_sel_hi:[0,1]
	v_and_b32_e32 v3, 0x7f800000, v2
	v_cmp_ne_u32_e32 vcc, s66, v3
                                        ; implicit-def: $vgpr27
	s_and_saveexec_b64 s[18:19], vcc
	s_xor_b64 s[18:19], exec, s[18:19]
; %bb.685:                              ;   in Loop: Header=BB4_518 Depth=1
	v_bfe_u32 v3, v2, 16, 1
	v_add3_u32 v27, v2, v3, s67
                                        ; implicit-def: $vgpr2_vgpr3
; %bb.686:                              ;   in Loop: Header=BB4_518 Depth=1
	s_andn2_saveexec_b64 s[18:19], s[18:19]
; %bb.687:                              ;   in Loop: Header=BB4_518 Depth=1
	v_or_b32_e32 v3, 0x10000, v2
	v_cmp_eq_u32_sdwa vcc, v2, v25 src0_sel:WORD_0 src1_sel:DWORD
	s_nop 1
	v_cndmask_b32_e32 v27, v3, v2, vcc
; %bb.688:                              ;   in Loop: Header=BB4_518 Depth=1
	s_or_b64 exec, exec, s[18:19]
	v_and_b32_e32 v2, 0xffff0000, v16
	v_and_b32_e32 v10, 0xffff0000, v20
	v_pk_mul_f32 v[2:3], v[2:3], v[10:11] op_sel_hi:[0,1]
	v_and_b32_e32 v3, 0x7f800000, v2
	v_cmp_ne_u32_e32 vcc, s66, v3
                                        ; implicit-def: $vgpr16
	s_and_saveexec_b64 s[18:19], vcc
	s_xor_b64 s[18:19], exec, s[18:19]
; %bb.689:                              ;   in Loop: Header=BB4_518 Depth=1
	v_bfe_u32 v3, v2, 16, 1
	v_add3_u32 v16, v2, v3, s67
                                        ; implicit-def: $vgpr2_vgpr3
; %bb.690:                              ;   in Loop: Header=BB4_518 Depth=1
	s_andn2_saveexec_b64 s[18:19], s[18:19]
; %bb.691:                              ;   in Loop: Header=BB4_518 Depth=1
	v_or_b32_e32 v3, 0x10000, v2
	v_cmp_eq_u32_sdwa vcc, v2, v25 src0_sel:WORD_0 src1_sel:DWORD
	s_nop 1
	v_cndmask_b32_e32 v16, v3, v2, vcc
; %bb.692:                              ;   in Loop: Header=BB4_518 Depth=1
	s_or_b64 exec, exec, s[18:19]
	v_mov_b32_e32 v3, v21
	v_lshlrev_b32_e32 v2, 16, v17
	v_lshlrev_b32_e32 v10, 16, v3
	v_pk_mul_f32 v[14:15], v[2:3], v[10:11] op_sel_hi:[0,1]
	v_and_b32_e32 v2, 0x7f800000, v14
	v_cmp_ne_u32_e32 vcc, s66, v2
                                        ; implicit-def: $vgpr20
	s_and_saveexec_b64 s[18:19], vcc
	s_xor_b64 s[18:19], exec, s[18:19]
; %bb.693:                              ;   in Loop: Header=BB4_518 Depth=1
	v_bfe_u32 v2, v14, 16, 1
	v_add3_u32 v20, v14, v2, s67
                                        ; implicit-def: $vgpr14_vgpr15
; %bb.694:                              ;   in Loop: Header=BB4_518 Depth=1
	s_andn2_saveexec_b64 s[18:19], s[18:19]
; %bb.695:                              ;   in Loop: Header=BB4_518 Depth=1
	v_or_b32_e32 v2, 0x10000, v14
	v_cmp_eq_u32_sdwa vcc, v14, v25 src0_sel:WORD_0 src1_sel:DWORD
	s_nop 1
	v_cndmask_b32_e32 v20, v2, v14, vcc
; %bb.696:                              ;   in Loop: Header=BB4_518 Depth=1
	s_or_b64 exec, exec, s[18:19]
	v_and_b32_e32 v2, 0xffff0000, v17
	v_and_b32_e32 v10, 0xffff0000, v3
	v_pk_mul_f32 v[2:3], v[2:3], v[10:11] op_sel_hi:[0,1]
	v_and_b32_e32 v3, 0x7f800000, v2
	v_cmp_ne_u32_e32 vcc, s66, v3
                                        ; implicit-def: $vgpr14
	s_and_saveexec_b64 s[18:19], vcc
	s_xor_b64 s[18:19], exec, s[18:19]
; %bb.697:                              ;   in Loop: Header=BB4_518 Depth=1
	v_bfe_u32 v3, v2, 16, 1
	v_add3_u32 v14, v2, v3, s67
                                        ; implicit-def: $vgpr2_vgpr3
; %bb.698:                              ;   in Loop: Header=BB4_518 Depth=1
	s_andn2_saveexec_b64 s[18:19], s[18:19]
; %bb.699:                              ;   in Loop: Header=BB4_518 Depth=1
	v_or_b32_e32 v3, 0x10000, v2
	v_cmp_eq_u32_sdwa vcc, v2, v25 src0_sel:WORD_0 src1_sel:DWORD
	s_nop 1
	v_cndmask_b32_e32 v14, v3, v2, vcc
; %bb.700:                              ;   in Loop: Header=BB4_518 Depth=1
	s_or_b64 exec, exec, s[18:19]
	v_lshrrev_b32_e32 v0, 16, v0
	v_and_or_b32 v10, v18, s69, v0
	v_lshrrev_b32_e32 v0, 16, v27
	v_lshrrev_b32_e32 v2, 16, v26
	v_and_or_b32 v12, v16, s69, v0
	v_lshrrev_b32_e32 v0, 16, v20
	v_and_or_b32 v11, v19, s69, v2
	v_and_or_b32 v13, v14, s69, v0
	global_store_dwordx4 v[28:29], v[10:13], off nt
.LBB4_701:                              ;   in Loop: Header=BB4_518 Depth=1
	s_or_b64 exec, exec, s[16:17]
	v_and_b32_e32 v2, 14, v59
	v_cndmask_b32_e64 v29, v41, v2, s[14:15]
	v_cmp_ne_u32_e32 vcc, 0, v29
                                        ; implicit-def: $vgpr59
                                        ; implicit-def: $vgpr16
                                        ; implicit-def: $vgpr0
                                        ; implicit-def: $vgpr17
	s_and_saveexec_b64 s[48:49], vcc
	s_cbranch_execz .LBB4_816
; %bb.702:                              ;   in Loop: Header=BB4_518 Depth=1
	v_sub_u32_e32 v0, v41, v2
	v_cndmask_b32_e64 v0, 0, v0, s[14:15]
	v_cmp_lt_i32_e32 vcc, 0, v24
	v_add_u32_e32 v28, v0, v40
	v_accvgpr_read_b32 v2, a11
	v_cndmask_b32_e32 v0, 0, v22, vcc
	v_sub_u32_e32 v0, v0, v24
	v_lshl_add_u32 v0, v0, 6, v2
	v_ashrrev_i32_e32 v2, 31, v0
	v_lshrrev_b32_e32 v2, 26, v2
	v_add_u32_e32 v2, v0, v2
	v_ashrrev_i32_e32 v10, 6, v2
	v_and_b32_e32 v2, 0xffffffc0, v2
	v_sub_u32_e32 v48, v0, v2
	v_lshlrev_b32_e32 v0, 4, v48
	v_lshl_add_u32 v0, v10, 10, v0
	v_add_u32_e32 v2, v0, v28
	v_sub_u32_e32 v59, v29, v0
	v_ashrrev_i32_e32 v0, 31, v29
	v_lshrrev_b32_e32 v0, 22, v0
	v_add_u32_e32 v0, v29, v0
	v_and_b32_e32 v49, 0xfffffc00, v0
	v_sub_u32_e32 v61, v29, v49
	v_ashrrev_i32_e32 v3, 10, v0
	v_cmp_lt_i32_e64 s[14:15], 15, v61
	s_mov_b64 s[18:19], 0
	s_nop 0
	v_addc_co_u32_e64 v0, vcc, 0, v3, s[14:15]
	v_sub_u32_e32 v24, v0, v10
	v_accvgpr_read_b32 v10, a28
	v_ashrrev_i32_e32 v3, 31, v2
	v_accvgpr_read_b32 v11, a29
	v_lshl_add_u64 v[18:19], v[2:3], 0, v[10:11]
	v_cmp_lt_i32_e32 vcc, 15, v59
	s_and_saveexec_b64 s[50:51], vcc
	s_cbranch_execz .LBB4_779
; %bb.703:                              ;   in Loop: Header=BB4_518 Depth=1
	v_lshl_add_u64 v[20:21], v[2:3], 0, v[44:45]
	v_lshl_add_u64 v[26:27], v[2:3], 0, v[46:47]
	s_mov_b64 s[56:57], 0
	s_mov_b64 s[52:53], 0
                                        ; implicit-def: $sgpr54_sgpr55
	s_branch .LBB4_705
.LBB4_704:                              ;   in Loop: Header=BB4_705 Depth=2
	s_or_b64 exec, exec, s[16:17]
	v_cmp_gt_i32_e32 vcc, 16, v59
	s_or_b64 s[52:53], vcc, s[52:53]
	s_andn2_b64 s[16:17], s[54:55], exec
	s_and_b64 s[18:19], s[56:57], exec
	s_or_b64 s[54:55], s[16:17], s[18:19]
	s_andn2_b64 exec, exec, s[52:53]
	s_cbranch_execz .LBB4_778
.LBB4_705:                              ;   Parent Loop BB4_518 Depth=1
                                        ; =>  This Loop Header: Depth=2
                                        ;       Child Loop BB4_706 Depth 3
                                        ;       Child Loop BB4_743 Depth 3
	s_add_i32 s16, s33, 64
	v_mov_b32_e32 v0, s16
	s_mov_b64 s[58:59], -1
	s_mov_b64 s[60:61], 0
.LBB4_706:                              ;   Parent Loop BB4_518 Depth=1
                                        ;     Parent Loop BB4_705 Depth=2
                                        ; =>    This Inner Loop Header: Depth=3
	s_cmp_eq_u32 s60, 1
	s_cselect_b64 vcc, -1, 0
	v_cndmask_b32_e32 v3, v21, v27, vcc
	v_cndmask_b32_e32 v2, v20, v26, vcc
	global_load_dwordx4 v[10:13], v[2:3], off nt
	s_cmp_eq_u32 s60, 0
	v_lshl_add_u64 v[2:3], v[2:3], 0, s[30:31]
	s_cselect_b64 s[16:17], -1, 0
	s_and_b64 s[18:19], exec, s[58:59]
	s_mov_b64 s[60:61], 1
	s_mov_b64 s[58:59], 0
	v_cndmask_b32_e64 v21, v21, v3, s[16:17]
	v_cndmask_b32_e64 v20, v20, v2, s[16:17]
	v_cndmask_b32_e32 v27, v27, v3, vcc
	v_cndmask_b32_e32 v26, v26, v2, vcc
	s_mov_b64 vcc, s[18:19]
	s_waitcnt vmcnt(0)
	scratch_store_dwordx4 v0, v[10:13], off
	v_mov_b32_e32 v0, v1
	s_cbranch_vccnz .LBB4_706
; %bb.707:                              ;   in Loop: Header=BB4_705 Depth=2
	s_and_saveexec_b64 s[16:17], s[56:57]
	s_cbranch_execz .LBB4_741
; %bb.708:                              ;   in Loop: Header=BB4_705 Depth=2
	scratch_load_dwordx4 v[10:13], off, s33 offset:112
	scratch_load_dwordx4 v[14:17], off, s33 offset:96
	s_waitcnt vmcnt(1)
	v_lshlrev_b32_e32 v0, 16, v10
	s_waitcnt vmcnt(0)
	v_lshlrev_b32_e32 v2, 16, v14
	v_pk_mul_f32 v[2:3], v[0:1], v[2:3] op_sel_hi:[0,1]
	v_and_b32_e32 v0, 0x7f800000, v2
	v_cmp_ne_u32_e32 vcc, s66, v0
                                        ; implicit-def: $vgpr0
	s_and_saveexec_b64 s[18:19], vcc
	s_xor_b64 s[18:19], exec, s[18:19]
; %bb.709:                              ;   in Loop: Header=BB4_705 Depth=2
	v_bfe_u32 v0, v2, 16, 1
	v_add3_u32 v0, v2, v0, s67
                                        ; implicit-def: $vgpr2_vgpr3
; %bb.710:                              ;   in Loop: Header=BB4_705 Depth=2
	s_andn2_saveexec_b64 s[18:19], s[18:19]
; %bb.711:                              ;   in Loop: Header=BB4_705 Depth=2
	v_or_b32_e32 v0, 0x10000, v2
	v_cmp_eq_u32_sdwa vcc, v2, v25 src0_sel:WORD_0 src1_sel:DWORD
	s_nop 1
	v_cndmask_b32_e32 v0, v0, v2, vcc
; %bb.712:                              ;   in Loop: Header=BB4_705 Depth=2
	s_or_b64 exec, exec, s[18:19]
	v_and_b32_e32 v2, 0xffff0000, v10
	v_and_b32_e32 v10, 0xffff0000, v14
	v_pk_mul_f32 v[2:3], v[2:3], v[10:11] op_sel_hi:[0,1]
	v_and_b32_e32 v3, 0x7f800000, v2
	v_cmp_ne_u32_e32 vcc, s66, v3
                                        ; implicit-def: $vgpr14
	s_and_saveexec_b64 s[18:19], vcc
	s_xor_b64 s[18:19], exec, s[18:19]
; %bb.713:                              ;   in Loop: Header=BB4_705 Depth=2
	v_bfe_u32 v3, v2, 16, 1
	v_add3_u32 v14, v2, v3, s67
                                        ; implicit-def: $vgpr2_vgpr3
; %bb.714:                              ;   in Loop: Header=BB4_705 Depth=2
	s_andn2_saveexec_b64 s[18:19], s[18:19]
; %bb.715:                              ;   in Loop: Header=BB4_705 Depth=2
	v_or_b32_e32 v3, 0x10000, v2
	v_cmp_eq_u32_sdwa vcc, v2, v25 src0_sel:WORD_0 src1_sel:DWORD
	s_nop 1
	v_cndmask_b32_e32 v14, v3, v2, vcc
; %bb.716:                              ;   in Loop: Header=BB4_705 Depth=2
	s_or_b64 exec, exec, s[18:19]
	v_mov_b32_e32 v3, v11
	v_lshlrev_b32_e32 v2, 16, v3
	v_lshlrev_b32_e32 v10, 16, v15
	v_pk_mul_f32 v[10:11], v[2:3], v[10:11] op_sel_hi:[0,1]
	v_and_b32_e32 v2, 0x7f800000, v10
	v_cmp_ne_u32_e32 vcc, s66, v2
                                        ; implicit-def: $vgpr54
	s_and_saveexec_b64 s[18:19], vcc
	s_xor_b64 s[18:19], exec, s[18:19]
; %bb.717:                              ;   in Loop: Header=BB4_705 Depth=2
	v_bfe_u32 v2, v10, 16, 1
	v_add3_u32 v54, v10, v2, s67
                                        ; implicit-def: $vgpr10_vgpr11
; %bb.718:                              ;   in Loop: Header=BB4_705 Depth=2
	s_andn2_saveexec_b64 s[18:19], s[18:19]
; %bb.719:                              ;   in Loop: Header=BB4_705 Depth=2
	v_or_b32_e32 v2, 0x10000, v10
	v_cmp_eq_u32_sdwa vcc, v10, v25 src0_sel:WORD_0 src1_sel:DWORD
	s_nop 1
	v_cndmask_b32_e32 v54, v2, v10, vcc
; %bb.720:                              ;   in Loop: Header=BB4_705 Depth=2
	s_or_b64 exec, exec, s[18:19]
	v_and_b32_e32 v2, 0xffff0000, v3
	v_and_b32_e32 v10, 0xffff0000, v15
	v_pk_mul_f32 v[2:3], v[2:3], v[10:11] op_sel_hi:[0,1]
	v_and_b32_e32 v3, 0x7f800000, v2
	v_cmp_ne_u32_e32 vcc, s66, v3
                                        ; implicit-def: $vgpr15
	s_and_saveexec_b64 s[18:19], vcc
	s_xor_b64 s[18:19], exec, s[18:19]
; %bb.721:                              ;   in Loop: Header=BB4_705 Depth=2
	v_bfe_u32 v3, v2, 16, 1
	v_add3_u32 v15, v2, v3, s67
                                        ; implicit-def: $vgpr2_vgpr3
; %bb.722:                              ;   in Loop: Header=BB4_705 Depth=2
	s_andn2_saveexec_b64 s[18:19], s[18:19]
; %bb.723:                              ;   in Loop: Header=BB4_705 Depth=2
	v_or_b32_e32 v3, 0x10000, v2
	v_cmp_eq_u32_sdwa vcc, v2, v25 src0_sel:WORD_0 src1_sel:DWORD
	s_nop 1
	v_cndmask_b32_e32 v15, v3, v2, vcc
; %bb.724:                              ;   in Loop: Header=BB4_705 Depth=2
	s_or_b64 exec, exec, s[18:19]
	v_lshlrev_b32_e32 v2, 16, v12
	v_lshlrev_b32_e32 v10, 16, v16
	v_pk_mul_f32 v[2:3], v[2:3], v[10:11] op_sel_hi:[0,1]
	v_and_b32_e32 v3, 0x7f800000, v2
	v_cmp_ne_u32_e32 vcc, s66, v3
                                        ; implicit-def: $vgpr55
	s_and_saveexec_b64 s[18:19], vcc
	s_xor_b64 s[18:19], exec, s[18:19]
; %bb.725:                              ;   in Loop: Header=BB4_705 Depth=2
	v_bfe_u32 v3, v2, 16, 1
	v_add3_u32 v55, v2, v3, s67
                                        ; implicit-def: $vgpr2_vgpr3
; %bb.726:                              ;   in Loop: Header=BB4_705 Depth=2
	s_andn2_saveexec_b64 s[18:19], s[18:19]
; %bb.727:                              ;   in Loop: Header=BB4_705 Depth=2
	v_or_b32_e32 v3, 0x10000, v2
	v_cmp_eq_u32_sdwa vcc, v2, v25 src0_sel:WORD_0 src1_sel:DWORD
	s_nop 1
	v_cndmask_b32_e32 v55, v3, v2, vcc
; %bb.728:                              ;   in Loop: Header=BB4_705 Depth=2
	s_or_b64 exec, exec, s[18:19]
	v_and_b32_e32 v2, 0xffff0000, v12
	v_and_b32_e32 v10, 0xffff0000, v16
	v_pk_mul_f32 v[2:3], v[2:3], v[10:11] op_sel_hi:[0,1]
	v_and_b32_e32 v3, 0x7f800000, v2
	v_cmp_ne_u32_e32 vcc, s66, v3
                                        ; implicit-def: $vgpr12
	s_and_saveexec_b64 s[18:19], vcc
	s_xor_b64 s[18:19], exec, s[18:19]
; %bb.729:                              ;   in Loop: Header=BB4_705 Depth=2
	v_bfe_u32 v3, v2, 16, 1
	v_add3_u32 v12, v2, v3, s67
                                        ; implicit-def: $vgpr2_vgpr3
; %bb.730:                              ;   in Loop: Header=BB4_705 Depth=2
	s_andn2_saveexec_b64 s[18:19], s[18:19]
; %bb.731:                              ;   in Loop: Header=BB4_705 Depth=2
	v_or_b32_e32 v3, 0x10000, v2
	v_cmp_eq_u32_sdwa vcc, v2, v25 src0_sel:WORD_0 src1_sel:DWORD
	s_nop 1
	v_cndmask_b32_e32 v12, v3, v2, vcc
; %bb.732:                              ;   in Loop: Header=BB4_705 Depth=2
	s_or_b64 exec, exec, s[18:19]
	v_mov_b32_e32 v3, v17
	v_lshlrev_b32_e32 v2, 16, v13
	v_lshlrev_b32_e32 v10, 16, v3
	v_pk_mul_f32 v[10:11], v[2:3], v[10:11] op_sel_hi:[0,1]
	v_and_b32_e32 v2, 0x7f800000, v10
	v_cmp_ne_u32_e32 vcc, s66, v2
                                        ; implicit-def: $vgpr16
	s_and_saveexec_b64 s[18:19], vcc
	s_xor_b64 s[18:19], exec, s[18:19]
; %bb.733:                              ;   in Loop: Header=BB4_705 Depth=2
	v_bfe_u32 v2, v10, 16, 1
	v_add3_u32 v16, v10, v2, s67
                                        ; implicit-def: $vgpr10_vgpr11
; %bb.734:                              ;   in Loop: Header=BB4_705 Depth=2
	s_andn2_saveexec_b64 s[18:19], s[18:19]
; %bb.735:                              ;   in Loop: Header=BB4_705 Depth=2
	v_or_b32_e32 v2, 0x10000, v10
	v_cmp_eq_u32_sdwa vcc, v10, v25 src0_sel:WORD_0 src1_sel:DWORD
	s_nop 1
	v_cndmask_b32_e32 v16, v2, v10, vcc
; %bb.736:                              ;   in Loop: Header=BB4_705 Depth=2
	s_or_b64 exec, exec, s[18:19]
	v_and_b32_e32 v2, 0xffff0000, v13
	v_and_b32_e32 v10, 0xffff0000, v3
	v_pk_mul_f32 v[2:3], v[2:3], v[10:11] op_sel_hi:[0,1]
	v_and_b32_e32 v3, 0x7f800000, v2
	v_cmp_ne_u32_e32 vcc, s66, v3
                                        ; implicit-def: $vgpr10
	s_and_saveexec_b64 s[18:19], vcc
	s_xor_b64 s[18:19], exec, s[18:19]
; %bb.737:                              ;   in Loop: Header=BB4_705 Depth=2
	v_bfe_u32 v3, v2, 16, 1
	v_add3_u32 v10, v2, v3, s67
                                        ; implicit-def: $vgpr2_vgpr3
; %bb.738:                              ;   in Loop: Header=BB4_705 Depth=2
	s_andn2_saveexec_b64 s[18:19], s[18:19]
; %bb.739:                              ;   in Loop: Header=BB4_705 Depth=2
	v_or_b32_e32 v3, 0x10000, v2
	v_cmp_eq_u32_sdwa vcc, v2, v25 src0_sel:WORD_0 src1_sel:DWORD
	s_nop 1
	v_cndmask_b32_e32 v10, v3, v2, vcc
; %bb.740:                              ;   in Loop: Header=BB4_705 Depth=2
	s_or_b64 exec, exec, s[18:19]
	v_lshrrev_b32_e32 v0, 16, v0
	v_lshrrev_b32_e32 v2, 16, v54
	v_and_or_b32 v44, v14, s69, v0
	v_lshrrev_b32_e32 v0, 16, v55
	v_and_or_b32 v45, v15, s69, v2
	v_and_or_b32 v46, v12, s69, v0
	v_lshrrev_b32_e32 v0, 16, v16
	v_accvgpr_read_b32 v2, a18
	v_and_or_b32 v47, v10, s69, v0
	v_accvgpr_read_b32 v3, a19
	scratch_store_dwordx4 off, v[44:47], s33 offset:96
	global_store_dwordx4 v[18:19], v[44:47], off nt
	v_lshl_add_u64 v[18:19], v[2:3], 0, v[18:19]
.LBB4_741:                              ;   in Loop: Header=BB4_705 Depth=2
	s_or_b64 exec, exec, s[16:17]
	v_sub_u32_e32 v59, v59, v36
	v_lshl_add_u64 v[20:21], v[20:21], 0, v[52:53]
	v_lshl_add_u64 v[26:27], v[26:27], 0, v[52:53]
	v_cmp_lt_i32_e64 s[56:57], 15, v59
	s_and_saveexec_b64 s[58:59], s[56:57]
	s_cbranch_execz .LBB4_744
; %bb.742:                              ;   in Loop: Header=BB4_705 Depth=2
	s_add_i32 s16, s33, 0x60
	v_mov_b32_e32 v0, s16
	s_mov_b64 s[62:63], 0
	s_mov_b64 s[60:61], -1
.LBB4_743:                              ;   Parent Loop BB4_518 Depth=1
                                        ;     Parent Loop BB4_705 Depth=2
                                        ; =>    This Inner Loop Header: Depth=3
	s_cmp_eq_u32 s62, 1
	s_cselect_b64 vcc, -1, 0
	v_cndmask_b32_e32 v3, v21, v27, vcc
	v_cndmask_b32_e32 v2, v20, v26, vcc
	global_load_dwordx4 v[10:13], v[2:3], off nt
	s_cmp_eq_u32 s62, 0
	v_lshl_add_u64 v[2:3], v[2:3], 0, s[30:31]
	s_cselect_b64 s[16:17], -1, 0
	s_and_b64 s[18:19], exec, s[60:61]
	s_mov_b64 s[62:63], 1
	s_mov_b64 s[60:61], 0
	v_cndmask_b32_e64 v21, v21, v3, s[16:17]
	v_cndmask_b32_e64 v20, v20, v2, s[16:17]
	v_cndmask_b32_e32 v27, v27, v3, vcc
	v_cndmask_b32_e32 v26, v26, v2, vcc
	s_mov_b64 vcc, s[18:19]
	s_waitcnt vmcnt(0)
	scratch_store_dwordx4 v0, v[10:13], off
	v_mov_b32_e32 v0, v37
	s_cbranch_vccnz .LBB4_743
.LBB4_744:                              ;   in Loop: Header=BB4_705 Depth=2
	s_or_b64 exec, exec, s[58:59]
	scratch_load_dwordx4 v[10:13], off, s33 offset:80
	scratch_load_dwordx4 v[14:17], off, s33 offset:64
	s_waitcnt vmcnt(1)
	v_lshlrev_b32_e32 v0, 16, v10
	s_waitcnt vmcnt(0)
	v_lshlrev_b32_e32 v2, 16, v14
	v_pk_mul_f32 v[2:3], v[0:1], v[2:3] op_sel_hi:[0,1]
	v_and_b32_e32 v0, 0x7f800000, v2
	v_cmp_ne_u32_e32 vcc, s66, v0
                                        ; implicit-def: $vgpr0
	s_and_saveexec_b64 s[16:17], vcc
	s_xor_b64 s[16:17], exec, s[16:17]
; %bb.745:                              ;   in Loop: Header=BB4_705 Depth=2
	v_bfe_u32 v0, v2, 16, 1
	v_add3_u32 v0, v2, v0, s67
                                        ; implicit-def: $vgpr2_vgpr3
; %bb.746:                              ;   in Loop: Header=BB4_705 Depth=2
	s_andn2_saveexec_b64 s[16:17], s[16:17]
; %bb.747:                              ;   in Loop: Header=BB4_705 Depth=2
	v_or_b32_e32 v0, 0x10000, v2
	v_cmp_eq_u32_sdwa vcc, v2, v25 src0_sel:WORD_0 src1_sel:DWORD
	s_nop 1
	v_cndmask_b32_e32 v0, v0, v2, vcc
; %bb.748:                              ;   in Loop: Header=BB4_705 Depth=2
	s_or_b64 exec, exec, s[16:17]
	v_and_b32_e32 v2, 0xffff0000, v10
	v_and_b32_e32 v10, 0xffff0000, v14
	v_pk_mul_f32 v[2:3], v[2:3], v[10:11] op_sel_hi:[0,1]
	v_and_b32_e32 v3, 0x7f800000, v2
	v_cmp_ne_u32_e32 vcc, s66, v3
                                        ; implicit-def: $vgpr14
	s_and_saveexec_b64 s[16:17], vcc
	s_xor_b64 s[16:17], exec, s[16:17]
; %bb.749:                              ;   in Loop: Header=BB4_705 Depth=2
	v_bfe_u32 v3, v2, 16, 1
	v_add3_u32 v14, v2, v3, s67
                                        ; implicit-def: $vgpr2_vgpr3
; %bb.750:                              ;   in Loop: Header=BB4_705 Depth=2
	s_andn2_saveexec_b64 s[16:17], s[16:17]
; %bb.751:                              ;   in Loop: Header=BB4_705 Depth=2
	v_or_b32_e32 v3, 0x10000, v2
	v_cmp_eq_u32_sdwa vcc, v2, v25 src0_sel:WORD_0 src1_sel:DWORD
	s_nop 1
	v_cndmask_b32_e32 v14, v3, v2, vcc
; %bb.752:                              ;   in Loop: Header=BB4_705 Depth=2
	s_or_b64 exec, exec, s[16:17]
	v_mov_b32_e32 v3, v11
	v_lshlrev_b32_e32 v2, 16, v3
	v_lshlrev_b32_e32 v10, 16, v15
	v_pk_mul_f32 v[10:11], v[2:3], v[10:11] op_sel_hi:[0,1]
	v_and_b32_e32 v2, 0x7f800000, v10
	v_cmp_ne_u32_e32 vcc, s66, v2
                                        ; implicit-def: $vgpr54
	s_and_saveexec_b64 s[16:17], vcc
	s_xor_b64 s[16:17], exec, s[16:17]
; %bb.753:                              ;   in Loop: Header=BB4_705 Depth=2
	v_bfe_u32 v2, v10, 16, 1
	v_add3_u32 v54, v10, v2, s67
                                        ; implicit-def: $vgpr10_vgpr11
; %bb.754:                              ;   in Loop: Header=BB4_705 Depth=2
	s_andn2_saveexec_b64 s[16:17], s[16:17]
; %bb.755:                              ;   in Loop: Header=BB4_705 Depth=2
	v_or_b32_e32 v2, 0x10000, v10
	v_cmp_eq_u32_sdwa vcc, v10, v25 src0_sel:WORD_0 src1_sel:DWORD
	s_nop 1
	v_cndmask_b32_e32 v54, v2, v10, vcc
; %bb.756:                              ;   in Loop: Header=BB4_705 Depth=2
	s_or_b64 exec, exec, s[16:17]
	v_and_b32_e32 v2, 0xffff0000, v3
	v_and_b32_e32 v10, 0xffff0000, v15
	v_pk_mul_f32 v[2:3], v[2:3], v[10:11] op_sel_hi:[0,1]
	v_and_b32_e32 v3, 0x7f800000, v2
	v_cmp_ne_u32_e32 vcc, s66, v3
                                        ; implicit-def: $vgpr15
	s_and_saveexec_b64 s[16:17], vcc
	s_xor_b64 s[16:17], exec, s[16:17]
; %bb.757:                              ;   in Loop: Header=BB4_705 Depth=2
	v_bfe_u32 v3, v2, 16, 1
	v_add3_u32 v15, v2, v3, s67
                                        ; implicit-def: $vgpr2_vgpr3
; %bb.758:                              ;   in Loop: Header=BB4_705 Depth=2
	s_andn2_saveexec_b64 s[16:17], s[16:17]
; %bb.759:                              ;   in Loop: Header=BB4_705 Depth=2
	v_or_b32_e32 v3, 0x10000, v2
	v_cmp_eq_u32_sdwa vcc, v2, v25 src0_sel:WORD_0 src1_sel:DWORD
	s_nop 1
	v_cndmask_b32_e32 v15, v3, v2, vcc
; %bb.760:                              ;   in Loop: Header=BB4_705 Depth=2
	s_or_b64 exec, exec, s[16:17]
	v_lshlrev_b32_e32 v2, 16, v12
	v_lshlrev_b32_e32 v10, 16, v16
	v_pk_mul_f32 v[2:3], v[2:3], v[10:11] op_sel_hi:[0,1]
	v_and_b32_e32 v3, 0x7f800000, v2
	v_cmp_ne_u32_e32 vcc, s66, v3
                                        ; implicit-def: $vgpr55
	s_and_saveexec_b64 s[16:17], vcc
	s_xor_b64 s[16:17], exec, s[16:17]
; %bb.761:                              ;   in Loop: Header=BB4_705 Depth=2
	v_bfe_u32 v3, v2, 16, 1
	v_add3_u32 v55, v2, v3, s67
                                        ; implicit-def: $vgpr2_vgpr3
; %bb.762:                              ;   in Loop: Header=BB4_705 Depth=2
	s_andn2_saveexec_b64 s[16:17], s[16:17]
; %bb.763:                              ;   in Loop: Header=BB4_705 Depth=2
	v_or_b32_e32 v3, 0x10000, v2
	v_cmp_eq_u32_sdwa vcc, v2, v25 src0_sel:WORD_0 src1_sel:DWORD
	s_nop 1
	v_cndmask_b32_e32 v55, v3, v2, vcc
; %bb.764:                              ;   in Loop: Header=BB4_705 Depth=2
	s_or_b64 exec, exec, s[16:17]
	v_and_b32_e32 v2, 0xffff0000, v12
	v_and_b32_e32 v10, 0xffff0000, v16
	v_pk_mul_f32 v[2:3], v[2:3], v[10:11] op_sel_hi:[0,1]
	v_and_b32_e32 v3, 0x7f800000, v2
	v_cmp_ne_u32_e32 vcc, s66, v3
                                        ; implicit-def: $vgpr12
	s_and_saveexec_b64 s[16:17], vcc
	s_xor_b64 s[16:17], exec, s[16:17]
; %bb.765:                              ;   in Loop: Header=BB4_705 Depth=2
	v_bfe_u32 v3, v2, 16, 1
	v_add3_u32 v12, v2, v3, s67
                                        ; implicit-def: $vgpr2_vgpr3
; %bb.766:                              ;   in Loop: Header=BB4_705 Depth=2
	s_andn2_saveexec_b64 s[16:17], s[16:17]
; %bb.767:                              ;   in Loop: Header=BB4_705 Depth=2
	v_or_b32_e32 v3, 0x10000, v2
	v_cmp_eq_u32_sdwa vcc, v2, v25 src0_sel:WORD_0 src1_sel:DWORD
	s_nop 1
	v_cndmask_b32_e32 v12, v3, v2, vcc
; %bb.768:                              ;   in Loop: Header=BB4_705 Depth=2
	s_or_b64 exec, exec, s[16:17]
	v_mov_b32_e32 v3, v17
	v_lshlrev_b32_e32 v2, 16, v13
	v_lshlrev_b32_e32 v10, 16, v3
	v_pk_mul_f32 v[10:11], v[2:3], v[10:11] op_sel_hi:[0,1]
	v_and_b32_e32 v2, 0x7f800000, v10
	v_cmp_ne_u32_e32 vcc, s66, v2
                                        ; implicit-def: $vgpr16
	s_and_saveexec_b64 s[16:17], vcc
	s_xor_b64 s[16:17], exec, s[16:17]
; %bb.769:                              ;   in Loop: Header=BB4_705 Depth=2
	v_bfe_u32 v2, v10, 16, 1
	v_add3_u32 v16, v10, v2, s67
                                        ; implicit-def: $vgpr10_vgpr11
; %bb.770:                              ;   in Loop: Header=BB4_705 Depth=2
	s_andn2_saveexec_b64 s[16:17], s[16:17]
; %bb.771:                              ;   in Loop: Header=BB4_705 Depth=2
	v_or_b32_e32 v2, 0x10000, v10
	v_cmp_eq_u32_sdwa vcc, v10, v25 src0_sel:WORD_0 src1_sel:DWORD
	s_nop 1
	v_cndmask_b32_e32 v16, v2, v10, vcc
; %bb.772:                              ;   in Loop: Header=BB4_705 Depth=2
	s_or_b64 exec, exec, s[16:17]
	v_and_b32_e32 v2, 0xffff0000, v13
	v_and_b32_e32 v10, 0xffff0000, v3
	v_pk_mul_f32 v[2:3], v[2:3], v[10:11] op_sel_hi:[0,1]
	v_and_b32_e32 v3, 0x7f800000, v2
	v_cmp_ne_u32_e32 vcc, s66, v3
                                        ; implicit-def: $vgpr10
	s_and_saveexec_b64 s[16:17], vcc
	s_xor_b64 s[16:17], exec, s[16:17]
; %bb.773:                              ;   in Loop: Header=BB4_705 Depth=2
	v_bfe_u32 v3, v2, 16, 1
	v_add3_u32 v10, v2, v3, s67
                                        ; implicit-def: $vgpr2_vgpr3
; %bb.774:                              ;   in Loop: Header=BB4_705 Depth=2
	s_andn2_saveexec_b64 s[16:17], s[16:17]
; %bb.775:                              ;   in Loop: Header=BB4_705 Depth=2
	v_or_b32_e32 v3, 0x10000, v2
	v_cmp_eq_u32_sdwa vcc, v2, v25 src0_sel:WORD_0 src1_sel:DWORD
	s_nop 1
	v_cndmask_b32_e32 v10, v3, v2, vcc
; %bb.776:                              ;   in Loop: Header=BB4_705 Depth=2
	s_or_b64 exec, exec, s[16:17]
	v_lshrrev_b32_e32 v0, 16, v0
	v_and_or_b32 v44, v14, s69, v0
	v_lshrrev_b32_e32 v0, 16, v55
	v_lshrrev_b32_e32 v2, 16, v54
	v_and_or_b32 v46, v12, s69, v0
	v_lshrrev_b32_e32 v0, 16, v16
	v_and_or_b32 v45, v15, s69, v2
	v_and_or_b32 v47, v10, s69, v0
	v_sub_u32_e32 v24, v24, v22
	scratch_store_dwordx4 off, v[44:47], s33 offset:64
	global_store_dwordx4 v[18:19], v[44:47], off nt
	v_lshl_add_u64 v[18:19], v[18:19], 0, s[30:31]
	s_and_saveexec_b64 s[16:17], s[56:57]
	s_cbranch_execz .LBB4_704
; %bb.777:                              ;   in Loop: Header=BB4_705 Depth=2
	v_lshl_add_u64 v[20:21], v[20:21], 0, v[52:53]
	v_lshl_add_u64 v[26:27], v[26:27], 0, v[52:53]
	;; [unrolled: 1-line block ×3, first 2 shown]
	v_sub_u32_e32 v59, v59, v36
	v_sub_u32_e32 v24, v24, v22
	s_branch .LBB4_704
.LBB4_778:                              ;   in Loop: Header=BB4_518 Depth=1
	s_or_b64 exec, exec, s[52:53]
	s_and_b64 s[18:19], s[54:55], exec
.LBB4_779:                              ;   in Loop: Header=BB4_518 Depth=1
	s_or_b64 exec, exec, s[50:51]
	s_and_saveexec_b64 s[16:17], s[18:19]
	s_cbranch_execz .LBB4_813
; %bb.780:                              ;   in Loop: Header=BB4_518 Depth=1
	scratch_load_dwordx4 v[10:13], off, s33 offset:112
	scratch_load_dwordx4 v[14:17], off, s33 offset:96
	s_waitcnt vmcnt(0)
	v_lshlrev_b32_e32 v0, 16, v10
	v_lshlrev_b32_e32 v2, 16, v14
	v_pk_mul_f32 v[2:3], v[0:1], v[2:3] op_sel_hi:[0,1]
	v_and_b32_e32 v0, 0x7f800000, v2
	v_cmp_ne_u32_e32 vcc, s66, v0
                                        ; implicit-def: $vgpr0
	s_and_saveexec_b64 s[18:19], vcc
	s_xor_b64 s[18:19], exec, s[18:19]
; %bb.781:                              ;   in Loop: Header=BB4_518 Depth=1
	v_bfe_u32 v0, v2, 16, 1
	v_add3_u32 v0, v2, v0, s67
                                        ; implicit-def: $vgpr2_vgpr3
; %bb.782:                              ;   in Loop: Header=BB4_518 Depth=1
	s_andn2_saveexec_b64 s[18:19], s[18:19]
; %bb.783:                              ;   in Loop: Header=BB4_518 Depth=1
	v_or_b32_e32 v0, 0x10000, v2
	v_cmp_eq_u32_sdwa vcc, v2, v25 src0_sel:WORD_0 src1_sel:DWORD
	s_nop 1
	v_cndmask_b32_e32 v0, v0, v2, vcc
; %bb.784:                              ;   in Loop: Header=BB4_518 Depth=1
	s_or_b64 exec, exec, s[18:19]
	v_and_b32_e32 v2, 0xffff0000, v10
	v_and_b32_e32 v10, 0xffff0000, v14
	v_pk_mul_f32 v[2:3], v[2:3], v[10:11] op_sel_hi:[0,1]
	v_and_b32_e32 v3, 0x7f800000, v2
	v_cmp_ne_u32_e32 vcc, s66, v3
                                        ; implicit-def: $vgpr14
	s_and_saveexec_b64 s[18:19], vcc
	s_xor_b64 s[18:19], exec, s[18:19]
; %bb.785:                              ;   in Loop: Header=BB4_518 Depth=1
	v_bfe_u32 v3, v2, 16, 1
	v_add3_u32 v14, v2, v3, s67
                                        ; implicit-def: $vgpr2_vgpr3
; %bb.786:                              ;   in Loop: Header=BB4_518 Depth=1
	s_andn2_saveexec_b64 s[18:19], s[18:19]
; %bb.787:                              ;   in Loop: Header=BB4_518 Depth=1
	v_or_b32_e32 v3, 0x10000, v2
	v_cmp_eq_u32_sdwa vcc, v2, v25 src0_sel:WORD_0 src1_sel:DWORD
	s_nop 1
	v_cndmask_b32_e32 v14, v3, v2, vcc
; %bb.788:                              ;   in Loop: Header=BB4_518 Depth=1
	s_or_b64 exec, exec, s[18:19]
	v_mov_b32_e32 v3, v11
	v_lshlrev_b32_e32 v2, 16, v3
	v_lshlrev_b32_e32 v10, 16, v15
	v_pk_mul_f32 v[10:11], v[2:3], v[10:11] op_sel_hi:[0,1]
	v_and_b32_e32 v2, 0x7f800000, v10
	v_cmp_ne_u32_e32 vcc, s66, v2
                                        ; implicit-def: $vgpr20
	s_and_saveexec_b64 s[18:19], vcc
	s_xor_b64 s[18:19], exec, s[18:19]
; %bb.789:                              ;   in Loop: Header=BB4_518 Depth=1
	v_bfe_u32 v2, v10, 16, 1
	v_add3_u32 v20, v10, v2, s67
                                        ; implicit-def: $vgpr10_vgpr11
; %bb.790:                              ;   in Loop: Header=BB4_518 Depth=1
	s_andn2_saveexec_b64 s[18:19], s[18:19]
; %bb.791:                              ;   in Loop: Header=BB4_518 Depth=1
	v_or_b32_e32 v2, 0x10000, v10
	v_cmp_eq_u32_sdwa vcc, v10, v25 src0_sel:WORD_0 src1_sel:DWORD
	s_nop 1
	v_cndmask_b32_e32 v20, v2, v10, vcc
; %bb.792:                              ;   in Loop: Header=BB4_518 Depth=1
	s_or_b64 exec, exec, s[18:19]
	v_and_b32_e32 v2, 0xffff0000, v3
	v_and_b32_e32 v10, 0xffff0000, v15
	v_pk_mul_f32 v[2:3], v[2:3], v[10:11] op_sel_hi:[0,1]
	v_and_b32_e32 v3, 0x7f800000, v2
	v_cmp_ne_u32_e32 vcc, s66, v3
                                        ; implicit-def: $vgpr15
	s_and_saveexec_b64 s[18:19], vcc
	s_xor_b64 s[18:19], exec, s[18:19]
; %bb.793:                              ;   in Loop: Header=BB4_518 Depth=1
	v_bfe_u32 v3, v2, 16, 1
	v_add3_u32 v15, v2, v3, s67
                                        ; implicit-def: $vgpr2_vgpr3
; %bb.794:                              ;   in Loop: Header=BB4_518 Depth=1
	s_andn2_saveexec_b64 s[18:19], s[18:19]
; %bb.795:                              ;   in Loop: Header=BB4_518 Depth=1
	v_or_b32_e32 v3, 0x10000, v2
	v_cmp_eq_u32_sdwa vcc, v2, v25 src0_sel:WORD_0 src1_sel:DWORD
	s_nop 1
	v_cndmask_b32_e32 v15, v3, v2, vcc
; %bb.796:                              ;   in Loop: Header=BB4_518 Depth=1
	s_or_b64 exec, exec, s[18:19]
	v_lshlrev_b32_e32 v2, 16, v12
	v_lshlrev_b32_e32 v10, 16, v16
	v_pk_mul_f32 v[2:3], v[2:3], v[10:11] op_sel_hi:[0,1]
	v_and_b32_e32 v3, 0x7f800000, v2
	v_cmp_ne_u32_e32 vcc, s66, v3
                                        ; implicit-def: $vgpr21
	s_and_saveexec_b64 s[18:19], vcc
	s_xor_b64 s[18:19], exec, s[18:19]
; %bb.797:                              ;   in Loop: Header=BB4_518 Depth=1
	v_bfe_u32 v3, v2, 16, 1
	v_add3_u32 v21, v2, v3, s67
                                        ; implicit-def: $vgpr2_vgpr3
; %bb.798:                              ;   in Loop: Header=BB4_518 Depth=1
	s_andn2_saveexec_b64 s[18:19], s[18:19]
; %bb.799:                              ;   in Loop: Header=BB4_518 Depth=1
	v_or_b32_e32 v3, 0x10000, v2
	v_cmp_eq_u32_sdwa vcc, v2, v25 src0_sel:WORD_0 src1_sel:DWORD
	s_nop 1
	v_cndmask_b32_e32 v21, v3, v2, vcc
; %bb.800:                              ;   in Loop: Header=BB4_518 Depth=1
	s_or_b64 exec, exec, s[18:19]
	v_and_b32_e32 v2, 0xffff0000, v12
	v_and_b32_e32 v10, 0xffff0000, v16
	v_pk_mul_f32 v[2:3], v[2:3], v[10:11] op_sel_hi:[0,1]
	v_and_b32_e32 v3, 0x7f800000, v2
	v_cmp_ne_u32_e32 vcc, s66, v3
                                        ; implicit-def: $vgpr12
	s_and_saveexec_b64 s[18:19], vcc
	s_xor_b64 s[18:19], exec, s[18:19]
; %bb.801:                              ;   in Loop: Header=BB4_518 Depth=1
	v_bfe_u32 v3, v2, 16, 1
	v_add3_u32 v12, v2, v3, s67
                                        ; implicit-def: $vgpr2_vgpr3
; %bb.802:                              ;   in Loop: Header=BB4_518 Depth=1
	s_andn2_saveexec_b64 s[18:19], s[18:19]
; %bb.803:                              ;   in Loop: Header=BB4_518 Depth=1
	v_or_b32_e32 v3, 0x10000, v2
	v_cmp_eq_u32_sdwa vcc, v2, v25 src0_sel:WORD_0 src1_sel:DWORD
	s_nop 1
	v_cndmask_b32_e32 v12, v3, v2, vcc
; %bb.804:                              ;   in Loop: Header=BB4_518 Depth=1
	s_or_b64 exec, exec, s[18:19]
	v_mov_b32_e32 v3, v17
	v_lshlrev_b32_e32 v2, 16, v13
	v_lshlrev_b32_e32 v10, 16, v3
	v_pk_mul_f32 v[10:11], v[2:3], v[10:11] op_sel_hi:[0,1]
	v_and_b32_e32 v2, 0x7f800000, v10
	v_cmp_ne_u32_e32 vcc, s66, v2
                                        ; implicit-def: $vgpr16
	s_and_saveexec_b64 s[18:19], vcc
	s_xor_b64 s[18:19], exec, s[18:19]
; %bb.805:                              ;   in Loop: Header=BB4_518 Depth=1
	v_bfe_u32 v2, v10, 16, 1
	v_add3_u32 v16, v10, v2, s67
                                        ; implicit-def: $vgpr10_vgpr11
; %bb.806:                              ;   in Loop: Header=BB4_518 Depth=1
	s_andn2_saveexec_b64 s[18:19], s[18:19]
; %bb.807:                              ;   in Loop: Header=BB4_518 Depth=1
	v_or_b32_e32 v2, 0x10000, v10
	v_cmp_eq_u32_sdwa vcc, v10, v25 src0_sel:WORD_0 src1_sel:DWORD
	s_nop 1
	v_cndmask_b32_e32 v16, v2, v10, vcc
; %bb.808:                              ;   in Loop: Header=BB4_518 Depth=1
	s_or_b64 exec, exec, s[18:19]
	v_and_b32_e32 v2, 0xffff0000, v13
	v_and_b32_e32 v10, 0xffff0000, v3
	v_pk_mul_f32 v[2:3], v[2:3], v[10:11] op_sel_hi:[0,1]
	v_and_b32_e32 v3, 0x7f800000, v2
	v_cmp_ne_u32_e32 vcc, s66, v3
                                        ; implicit-def: $vgpr10
	s_and_saveexec_b64 s[18:19], vcc
	s_xor_b64 s[18:19], exec, s[18:19]
; %bb.809:                              ;   in Loop: Header=BB4_518 Depth=1
	v_bfe_u32 v3, v2, 16, 1
	v_add3_u32 v10, v2, v3, s67
                                        ; implicit-def: $vgpr2_vgpr3
; %bb.810:                              ;   in Loop: Header=BB4_518 Depth=1
	s_andn2_saveexec_b64 s[18:19], s[18:19]
; %bb.811:                              ;   in Loop: Header=BB4_518 Depth=1
	v_or_b32_e32 v3, 0x10000, v2
	v_cmp_eq_u32_sdwa vcc, v2, v25 src0_sel:WORD_0 src1_sel:DWORD
	s_nop 1
	v_cndmask_b32_e32 v10, v3, v2, vcc
; %bb.812:                              ;   in Loop: Header=BB4_518 Depth=1
	s_or_b64 exec, exec, s[18:19]
	v_lshrrev_b32_e32 v0, 16, v0
	v_and_or_b32 v44, v14, s69, v0
	v_lshrrev_b32_e32 v0, 16, v21
	v_lshrrev_b32_e32 v2, 16, v20
	v_and_or_b32 v46, v12, s69, v0
	v_lshrrev_b32_e32 v0, 16, v16
	v_and_or_b32 v45, v15, s69, v2
	v_and_or_b32 v47, v10, s69, v0
	global_store_dwordx4 v[18:19], v[44:47], off nt
.LBB4_813:                              ;   in Loop: Header=BB4_518 Depth=1
	s_or_b64 exec, exec, s[16:17]
	v_and_b32_e32 v2, 14, v29
	v_cndmask_b32_e64 v59, v61, v2, s[14:15]
	v_cmp_ne_u32_e32 vcc, 0, v59
	s_mov_b64 s[16:17], s[46:47]
                                        ; implicit-def: $vgpr16
                                        ; implicit-def: $vgpr0
                                        ; implicit-def: $vgpr17
	s_and_saveexec_b64 s[18:19], vcc
	s_cbranch_execz .LBB4_815
; %bb.814:                              ;   in Loop: Header=BB4_518 Depth=1
	v_sub_u32_e32 v0, v61, v2
	v_cndmask_b32_e64 v0, 0, v0, s[14:15]
	v_cmp_lt_i32_e32 vcc, 0, v24
	v_add3_u32 v16, v49, v28, v0
	s_or_b64 s[16:17], s[46:47], exec
	v_cndmask_b32_e32 v0, 0, v22, vcc
	v_sub_u32_e32 v0, v0, v24
	v_lshl_add_u32 v0, v0, 6, v48
	v_ashrrev_i32_e32 v2, 31, v0
	v_lshrrev_b32_e32 v2, 26, v2
	v_add_u32_e32 v2, v0, v2
	v_and_b32_e32 v2, 0xffffffc0, v2
	v_sub_u32_e32 v17, v0, v2
.LBB4_815:                              ;   in Loop: Header=BB4_518 Depth=1
	s_or_b64 exec, exec, s[18:19]
	s_andn2_b64 s[14:15], s[46:47], exec
	s_and_b64 s[16:17], s[16:17], exec
	s_or_b64 s[46:47], s[14:15], s[16:17]
.LBB4_816:                              ;   in Loop: Header=BB4_518 Depth=1
	s_or_b64 exec, exec, s[48:49]
	s_and_saveexec_b64 s[18:19], s[46:47]
	s_cbranch_execz .LBB4_901
.LBB4_817:                              ;   in Loop: Header=BB4_518 Depth=1
	v_ashrrev_i32_e32 v2, 31, v0
	v_lshrrev_b32_e32 v2, 26, v2
	v_add_u32_e32 v0, v0, v2
	v_ashrrev_i32_e32 v0, 6, v0
	v_lshlrev_b32_e32 v2, 9, v0
	v_lshlrev_b32_e32 v3, 1, v17
	v_add3_u32 v12, v16, v3, v2
	v_ashrrev_i32_e32 v2, 31, v59
	v_lshrrev_b32_e32 v2, 23, v2
	v_add_u32_e32 v2, v59, v2
	v_ashrrev_i32_e32 v45, 9, v2
	s_waitcnt lgkmcnt(0)
	v_accvgpr_read_b32 v2, a28
	v_ashrrev_i32_e32 v13, 31, v12
	v_sub_u32_e32 v14, v45, v0
	v_accvgpr_read_b32 v3, a29
	v_lshl_add_u64 v[2:3], v[2:3], 0, v[12:13]
	v_cmp_lt_i32_e32 vcc, 0, v14
	s_mov_b64 s[16:17], 0
	v_mov_b32_e32 v11, 0
	v_mov_b32_e32 v19, 0
	;; [unrolled: 1-line block ×8, first 2 shown]
	s_and_saveexec_b64 s[14:15], vcc
	s_cbranch_execz .LBB4_857
; %bb.818:                              ;   in Loop: Header=BB4_518 Depth=1
	s_trap 2
	ds_read_b128 v[18:21], v0
	s_mov_b64 s[48:49], 0
	s_mov_b64 s[46:47], 0
                                        ; implicit-def: $sgpr16_sgpr17
                                        ; implicit-def: $vgpr61
                                        ; implicit-def: $vgpr28
                                        ; implicit-def: $vgpr27
                                        ; implicit-def: $vgpr26
                                        ; implicit-def: $vgpr24
	s_waitcnt lgkmcnt(0)
	v_lshl_add_u64 v[10:11], v[18:19], 0, v[12:13]
	v_lshl_add_u64 v[12:13], v[20:21], 0, v[12:13]
                                        ; implicit-def: $vgpr19
                                        ; implicit-def: $vgpr20
                                        ; implicit-def: $vgpr21
	s_branch .LBB4_820
.LBB4_819:                              ;   in Loop: Header=BB4_820 Depth=2
	s_or_b64 exec, exec, s[50:51]
	v_accvgpr_read_b32 v49, a21
	flat_store_short_d16_hi v[2:3], v55 nt
	flat_store_short_d16_hi v[2:3], v18 offset:128 nt
	flat_store_short_d16_hi v[2:3], v0 offset:256 nt
	;; [unrolled: 1-line block ×3, first 2 shown]
	v_accvgpr_read_b32 v48, a20
	v_mov_b32_e32 v0, 0x200
	v_lshl_add_u64 v[14:15], v[10:11], 0, v[48:49]
	v_cndmask_b32_e64 v54, v0, v42, s[48:49]
	v_cndmask_b32_e64 v0, 0, v22, s[48:49]
	;; [unrolled: 1-line block ×3, first 2 shown]
	v_sub_u32_e32 v14, v40, v0
	v_cmp_gt_i32_e32 vcc, 1, v14
	s_or_b64 s[46:47], vcc, s[46:47]
	v_lshl_add_u64 v[48:49], v[12:13], 0, v[48:49]
	v_cndmask_b32_e64 v55, 0, v43, s[48:49]
	s_andn2_b64 s[16:17], s[16:17], exec
	s_and_b64 vcc, s[48:49], exec
	v_lshl_add_u64 v[2:3], v[2:3], 0, v[54:55]
	v_cndmask_b32_e64 v11, v11, v15, s[48:49]
	v_cndmask_b32_e64 v13, v13, v49, s[48:49]
	;; [unrolled: 1-line block ×3, first 2 shown]
	s_or_b64 s[16:17], s[16:17], vcc
	s_andn2_b64 exec, exec, s[46:47]
	s_cbranch_execz .LBB4_856
.LBB4_820:                              ;   Parent Loop BB4_518 Depth=1
                                        ; =>  This Inner Loop Header: Depth=2
	flat_load_ushort v15, v[10:11] nt
	flat_load_ushort v18, v[10:11] offset:128 nt
	flat_load_ushort v49, v[10:11] offset:256 nt
	;; [unrolled: 1-line block ×3, first 2 shown]
	flat_load_ushort v55, v[12:13] nt
	flat_load_ushort v54, v[12:13] offset:128 nt
	flat_load_ushort v0, v[12:13] offset:256 nt
	;; [unrolled: 1-line block ×3, first 2 shown]
	s_and_saveexec_b64 s[50:51], s[48:49]
	s_cbranch_execz .LBB4_838
; %bb.821:                              ;   in Loop: Header=BB4_820 Depth=2
	v_lshlrev_b32_e32 v40, 16, v61
	v_lshlrev_b32_e32 v41, 16, v19
	v_mul_f32_e32 v41, v40, v41
	v_and_b32_e32 v40, 0x7f800000, v41
	v_cmp_ne_u32_e32 vcc, s66, v40
                                        ; implicit-def: $vgpr40
	s_and_saveexec_b64 s[48:49], vcc
	s_xor_b64 vcc, exec, s[48:49]
; %bb.822:                              ;   in Loop: Header=BB4_820 Depth=2
	v_bfe_u32 v40, v41, 16, 1
	v_add3_u32 v40, v41, v40, s67
                                        ; implicit-def: $vgpr41
; %bb.823:                              ;   in Loop: Header=BB4_820 Depth=2
	s_andn2_saveexec_b64 s[48:49], vcc
; %bb.824:                              ;   in Loop: Header=BB4_820 Depth=2
	v_or_b32_e32 v40, 0x10000, v41
	v_cmp_eq_u32_sdwa vcc, v41, v25 src0_sel:WORD_0 src1_sel:DWORD
	s_nop 1
	v_cndmask_b32_e32 v40, v40, v41, vcc
; %bb.825:                              ;   in Loop: Header=BB4_820 Depth=2
	s_or_b64 exec, exec, s[48:49]
	v_lshlrev_b32_e32 v28, 16, v28
	v_lshlrev_b32_e32 v41, 16, v20
	v_mul_f32_e32 v41, v28, v41
	v_and_b32_e32 v28, 0x7f800000, v41
	v_cmp_ne_u32_e32 vcc, s66, v28
                                        ; implicit-def: $vgpr28
	s_and_saveexec_b64 s[48:49], vcc
	s_xor_b64 vcc, exec, s[48:49]
; %bb.826:                              ;   in Loop: Header=BB4_820 Depth=2
	v_bfe_u32 v28, v41, 16, 1
	v_add3_u32 v28, v41, v28, s67
                                        ; implicit-def: $vgpr41
; %bb.827:                              ;   in Loop: Header=BB4_820 Depth=2
	s_andn2_saveexec_b64 s[48:49], vcc
; %bb.828:                              ;   in Loop: Header=BB4_820 Depth=2
	v_or_b32_e32 v28, 0x10000, v41
	v_cmp_eq_u32_sdwa vcc, v41, v25 src0_sel:WORD_0 src1_sel:DWORD
	s_nop 1
	v_cndmask_b32_e32 v28, v28, v41, vcc
; %bb.829:                              ;   in Loop: Header=BB4_820 Depth=2
	s_or_b64 exec, exec, s[48:49]
	v_lshlrev_b32_e32 v27, 16, v27
	v_lshlrev_b32_e32 v41, 16, v21
	v_mul_f32_e32 v41, v27, v41
	v_and_b32_e32 v27, 0x7f800000, v41
	v_cmp_ne_u32_e32 vcc, s66, v27
                                        ; implicit-def: $vgpr27
	s_and_saveexec_b64 s[48:49], vcc
	s_xor_b64 vcc, exec, s[48:49]
; %bb.830:                              ;   in Loop: Header=BB4_820 Depth=2
	v_bfe_u32 v27, v41, 16, 1
	v_add3_u32 v27, v41, v27, s67
                                        ; implicit-def: $vgpr41
; %bb.831:                              ;   in Loop: Header=BB4_820 Depth=2
	s_andn2_saveexec_b64 s[48:49], vcc
; %bb.832:                              ;   in Loop: Header=BB4_820 Depth=2
	v_or_b32_e32 v27, 0x10000, v41
	v_cmp_eq_u32_sdwa vcc, v41, v25 src0_sel:WORD_0 src1_sel:DWORD
	s_nop 1
	v_cndmask_b32_e32 v27, v27, v41, vcc
; %bb.833:                              ;   in Loop: Header=BB4_820 Depth=2
	s_or_b64 exec, exec, s[48:49]
	v_lshlrev_b32_e32 v26, 16, v26
	v_lshlrev_b32_e32 v41, 16, v24
	v_mul_f32_e32 v41, v26, v41
	v_and_b32_e32 v26, 0x7f800000, v41
	v_cmp_ne_u32_e32 vcc, s66, v26
                                        ; implicit-def: $vgpr26
	s_and_saveexec_b64 s[48:49], vcc
	s_xor_b64 vcc, exec, s[48:49]
; %bb.834:                              ;   in Loop: Header=BB4_820 Depth=2
	v_bfe_u32 v26, v41, 16, 1
	v_add3_u32 v26, v41, v26, s67
                                        ; implicit-def: $vgpr41
; %bb.835:                              ;   in Loop: Header=BB4_820 Depth=2
	s_andn2_saveexec_b64 s[48:49], vcc
; %bb.836:                              ;   in Loop: Header=BB4_820 Depth=2
	v_or_b32_e32 v26, 0x10000, v41
	v_cmp_eq_u32_sdwa vcc, v41, v25 src0_sel:WORD_0 src1_sel:DWORD
	s_nop 1
	v_cndmask_b32_e32 v26, v26, v41, vcc
; %bb.837:                              ;   in Loop: Header=BB4_820 Depth=2
	s_or_b64 exec, exec, s[48:49]
	v_lshrrev_b32_e32 v61, 16, v40
	v_lshrrev_b32_e32 v27, 16, v27
	;; [unrolled: 1-line block ×4, first 2 shown]
	flat_store_short v[2:3], v61 nt
	flat_store_short v[2:3], v28 offset:128 nt
	flat_store_short v[2:3], v27 offset:256 nt
	;; [unrolled: 1-line block ×3, first 2 shown]
	v_lshl_add_u64 v[2:3], v[2:3], 0, v[42:43]
.LBB4_838:                              ;   in Loop: Header=BB4_820 Depth=2
	s_or_b64 exec, exec, s[50:51]
	v_sub_u32_e32 v40, v14, v22
	v_lshl_add_u64 v[10:11], v[10:11], 0, v[42:43]
	v_lshl_add_u64 v[12:13], v[12:13], 0, v[42:43]
	v_cmp_lt_i32_e64 s[48:49], 0, v40
	s_and_saveexec_b64 vcc, s[48:49]
	s_cbranch_execz .LBB4_840
; %bb.839:                              ;   in Loop: Header=BB4_820 Depth=2
	flat_load_ushort v61, v[10:11] nt
	flat_load_ushort v28, v[10:11] offset:128 nt
	flat_load_ushort v27, v[10:11] offset:256 nt
	;; [unrolled: 1-line block ×3, first 2 shown]
	flat_load_ushort v19, v[12:13] nt
	flat_load_ushort v20, v[12:13] offset:128 nt
	flat_load_ushort v21, v[12:13] offset:256 nt
	;; [unrolled: 1-line block ×3, first 2 shown]
	v_lshl_add_u64 v[10:11], v[10:11], 0, s[34:35]
	v_lshl_add_u64 v[12:13], v[12:13], 0, s[34:35]
.LBB4_840:                              ;   in Loop: Header=BB4_820 Depth=2
	s_or_b64 exec, exec, vcc
	s_waitcnt vmcnt(0) lgkmcnt(0)
	v_lshlrev_b32_e32 v14, 16, v55
	v_lshlrev_b32_e32 v44, 16, v15
	v_pk_mul_f32 v[14:15], v[14:15], v[44:45] op_sel_hi:[0,1]
	v_and_b32_e32 v15, 0x7f800000, v14
	v_cmp_ne_u32_e32 vcc, s66, v15
                                        ; implicit-def: $vgpr55
	s_and_saveexec_b64 s[50:51], vcc
	s_xor_b64 vcc, exec, s[50:51]
; %bb.841:                              ;   in Loop: Header=BB4_820 Depth=2
	v_bfe_u32 v15, v14, 16, 1
	v_add3_u32 v55, v14, v15, s67
                                        ; implicit-def: $vgpr14_vgpr15
; %bb.842:                              ;   in Loop: Header=BB4_820 Depth=2
	s_andn2_saveexec_b64 s[50:51], vcc
; %bb.843:                              ;   in Loop: Header=BB4_820 Depth=2
	v_or_b32_e32 v15, 0x10000, v14
	v_cmp_eq_u32_sdwa vcc, v14, v25 src0_sel:WORD_0 src1_sel:DWORD
	s_nop 1
	v_cndmask_b32_e32 v55, v15, v14, vcc
; %bb.844:                              ;   in Loop: Header=BB4_820 Depth=2
	s_or_b64 exec, exec, s[50:51]
	v_lshlrev_b32_e32 v14, 16, v54
	v_lshlrev_b32_e32 v18, 16, v18
	v_pk_mul_f32 v[14:15], v[14:15], v[18:19] op_sel_hi:[0,1]
	v_and_b32_e32 v15, 0x7f800000, v14
	v_cmp_ne_u32_e32 vcc, s66, v15
                                        ; implicit-def: $vgpr18
	s_and_saveexec_b64 s[50:51], vcc
	s_xor_b64 vcc, exec, s[50:51]
; %bb.845:                              ;   in Loop: Header=BB4_820 Depth=2
	v_bfe_u32 v15, v14, 16, 1
	v_add3_u32 v18, v14, v15, s67
                                        ; implicit-def: $vgpr14_vgpr15
; %bb.846:                              ;   in Loop: Header=BB4_820 Depth=2
	s_andn2_saveexec_b64 s[50:51], vcc
; %bb.847:                              ;   in Loop: Header=BB4_820 Depth=2
	v_or_b32_e32 v15, 0x10000, v14
	v_cmp_eq_u32_sdwa vcc, v14, v25 src0_sel:WORD_0 src1_sel:DWORD
	s_nop 1
	v_cndmask_b32_e32 v18, v15, v14, vcc
; %bb.848:                              ;   in Loop: Header=BB4_820 Depth=2
	s_or_b64 exec, exec, s[50:51]
	v_lshlrev_b32_e32 v0, 16, v0
	v_lshlrev_b32_e32 v14, 16, v49
	v_pk_mul_f32 v[14:15], v[0:1], v[14:15] op_sel_hi:[0,1]
	v_and_b32_e32 v0, 0x7f800000, v14
	v_cmp_ne_u32_e32 vcc, s66, v0
                                        ; implicit-def: $vgpr0
	s_and_saveexec_b64 s[50:51], vcc
	s_xor_b64 vcc, exec, s[50:51]
; %bb.849:                              ;   in Loop: Header=BB4_820 Depth=2
	v_bfe_u32 v0, v14, 16, 1
	v_add3_u32 v0, v14, v0, s67
                                        ; implicit-def: $vgpr14_vgpr15
; %bb.850:                              ;   in Loop: Header=BB4_820 Depth=2
	s_andn2_saveexec_b64 s[50:51], vcc
; %bb.851:                              ;   in Loop: Header=BB4_820 Depth=2
	v_or_b32_e32 v0, 0x10000, v14
	v_cmp_eq_u32_sdwa vcc, v14, v25 src0_sel:WORD_0 src1_sel:DWORD
	s_nop 1
	v_cndmask_b32_e32 v0, v0, v14, vcc
; %bb.852:                              ;   in Loop: Header=BB4_820 Depth=2
	s_or_b64 exec, exec, s[50:51]
	v_lshlrev_b32_e32 v14, 16, v48
	v_lshlrev_b32_e32 v48, 16, v29
	v_pk_mul_f32 v[14:15], v[14:15], v[48:49] op_sel_hi:[0,1]
	v_and_b32_e32 v15, 0x7f800000, v14
	v_cmp_ne_u32_e32 vcc, s66, v15
                                        ; implicit-def: $vgpr29
	s_and_saveexec_b64 s[50:51], vcc
	s_xor_b64 vcc, exec, s[50:51]
; %bb.853:                              ;   in Loop: Header=BB4_820 Depth=2
	v_bfe_u32 v15, v14, 16, 1
	v_add3_u32 v29, v14, v15, s67
                                        ; implicit-def: $vgpr14_vgpr15
; %bb.854:                              ;   in Loop: Header=BB4_820 Depth=2
	s_andn2_saveexec_b64 s[50:51], vcc
	s_cbranch_execz .LBB4_819
; %bb.855:                              ;   in Loop: Header=BB4_820 Depth=2
	v_or_b32_e32 v15, 0x10000, v14
	v_cmp_eq_u32_sdwa vcc, v14, v25 src0_sel:WORD_0 src1_sel:DWORD
	s_nop 1
	v_cndmask_b32_e32 v29, v15, v14, vcc
	s_branch .LBB4_819
.LBB4_856:                              ;   in Loop: Header=BB4_518 Depth=1
	s_or_b64 exec, exec, s[46:47]
	v_lshlrev_b32_e32 v11, 16, v61
	v_lshlrev_b32_e32 v29, 16, v19
	;; [unrolled: 1-line block ×8, first 2 shown]
	s_and_b64 s[16:17], s[16:17], exec
.LBB4_857:                              ;   in Loop: Header=BB4_518 Depth=1
	s_or_b64 exec, exec, s[14:15]
	s_and_saveexec_b64 s[14:15], s[16:17]
	s_cbranch_execz .LBB4_875
; %bb.858:                              ;   in Loop: Header=BB4_518 Depth=1
	v_mul_f32_e32 v12, v29, v11
	v_and_b32_e32 v11, 0x7f800000, v12
	v_cmp_ne_u32_e32 vcc, s66, v11
                                        ; implicit-def: $vgpr11
	s_and_saveexec_b64 s[16:17], vcc
	s_xor_b64 s[16:17], exec, s[16:17]
; %bb.859:                              ;   in Loop: Header=BB4_518 Depth=1
	v_bfe_u32 v11, v12, 16, 1
	v_add3_u32 v11, v12, v11, s67
                                        ; implicit-def: $vgpr12
; %bb.860:                              ;   in Loop: Header=BB4_518 Depth=1
	s_andn2_saveexec_b64 s[16:17], s[16:17]
; %bb.861:                              ;   in Loop: Header=BB4_518 Depth=1
	v_or_b32_e32 v11, 0x10000, v12
	v_cmp_eq_u32_sdwa vcc, v12, v25 src0_sel:WORD_0 src1_sel:DWORD
	s_nop 1
	v_cndmask_b32_e32 v11, v11, v12, vcc
; %bb.862:                              ;   in Loop: Header=BB4_518 Depth=1
	s_or_b64 exec, exec, s[16:17]
	v_mul_f32_e32 v13, v20, v19
	v_and_b32_e32 v12, 0x7f800000, v13
	v_cmp_ne_u32_e32 vcc, s66, v12
                                        ; implicit-def: $vgpr12
	s_and_saveexec_b64 s[16:17], vcc
	s_xor_b64 s[16:17], exec, s[16:17]
; %bb.863:                              ;   in Loop: Header=BB4_518 Depth=1
	v_bfe_u32 v12, v13, 16, 1
	v_add3_u32 v12, v13, v12, s67
                                        ; implicit-def: $vgpr13
; %bb.864:                              ;   in Loop: Header=BB4_518 Depth=1
	s_andn2_saveexec_b64 s[16:17], s[16:17]
; %bb.865:                              ;   in Loop: Header=BB4_518 Depth=1
	v_or_b32_e32 v12, 0x10000, v13
	v_cmp_eq_u32_sdwa vcc, v13, v25 src0_sel:WORD_0 src1_sel:DWORD
	s_nop 1
	v_cndmask_b32_e32 v12, v12, v13, vcc
; %bb.866:                              ;   in Loop: Header=BB4_518 Depth=1
	s_or_b64 exec, exec, s[16:17]
	v_mul_f32_e32 v15, v18, v15
	v_and_b32_e32 v13, 0x7f800000, v15
	v_cmp_ne_u32_e32 vcc, s66, v13
                                        ; implicit-def: $vgpr13
	s_and_saveexec_b64 s[16:17], vcc
	s_xor_b64 s[16:17], exec, s[16:17]
; %bb.867:                              ;   in Loop: Header=BB4_518 Depth=1
	v_bfe_u32 v13, v15, 16, 1
	v_add3_u32 v13, v15, v13, s67
                                        ; implicit-def: $vgpr15
; %bb.868:                              ;   in Loop: Header=BB4_518 Depth=1
	s_andn2_saveexec_b64 s[16:17], s[16:17]
; %bb.869:                              ;   in Loop: Header=BB4_518 Depth=1
	v_or_b32_e32 v13, 0x10000, v15
	v_cmp_eq_u32_sdwa vcc, v15, v25 src0_sel:WORD_0 src1_sel:DWORD
	s_nop 1
	v_cndmask_b32_e32 v13, v13, v15, vcc
; %bb.870:                              ;   in Loop: Header=BB4_518 Depth=1
	s_or_b64 exec, exec, s[16:17]
	v_mul_f32_e32 v10, v10, v0
	v_and_b32_e32 v0, 0x7f800000, v10
	v_cmp_ne_u32_e32 vcc, s66, v0
                                        ; implicit-def: $vgpr0
	s_and_saveexec_b64 s[16:17], vcc
	s_xor_b64 s[16:17], exec, s[16:17]
; %bb.871:                              ;   in Loop: Header=BB4_518 Depth=1
	v_bfe_u32 v0, v10, 16, 1
	v_add3_u32 v0, v10, v0, s67
                                        ; implicit-def: $vgpr10
; %bb.872:                              ;   in Loop: Header=BB4_518 Depth=1
	s_andn2_saveexec_b64 s[16:17], s[16:17]
; %bb.873:                              ;   in Loop: Header=BB4_518 Depth=1
	v_or_b32_e32 v0, 0x10000, v10
	v_cmp_eq_u32_sdwa vcc, v10, v25 src0_sel:WORD_0 src1_sel:DWORD
	s_nop 1
	v_cndmask_b32_e32 v0, v0, v10, vcc
; %bb.874:                              ;   in Loop: Header=BB4_518 Depth=1
	s_or_b64 exec, exec, s[16:17]
	flat_store_short_d16_hi v[2:3], v11 nt
	flat_store_short_d16_hi v[2:3], v12 offset:128 nt
	flat_store_short_d16_hi v[2:3], v13 offset:256 nt
	;; [unrolled: 1-line block ×3, first 2 shown]
.LBB4_875:                              ;   in Loop: Header=BB4_518 Depth=1
	s_or_b64 exec, exec, s[14:15]
	v_lshlrev_b32_e32 v0, 9, v45
	v_cmp_ne_u32_e32 vcc, v59, v0
	v_accvgpr_read_b32 v27, a23
	v_accvgpr_read_b32 v29, a25
	s_and_b64 s[14:15], exec, vcc
	v_accvgpr_read_b32 v20, a15
	v_accvgpr_read_b32 v26, a22
	;; [unrolled: 1-line block ×3, first 2 shown]
	s_mov_b64 exec, s[14:15]
	s_cbranch_execz .LBB4_901
; %bb.876:                              ;   in Loop: Header=BB4_518 Depth=1
	v_lshlrev_b32_e32 v2, 6, v14
	v_sub_u32_e32 v2, v17, v2
	v_ashrrev_i32_e32 v3, 31, v2
	v_lshrrev_b32_e32 v3, 26, v3
	v_add_u32_e32 v3, v2, v3
	v_and_b32_e32 v10, 0x7fffffc0, v3
	v_sub_u32_e32 v2, v2, v10
	v_lshlrev_b32_e32 v3, 1, v3
	v_and_b32_e32 v3, 0xffffff80, v3
	v_lshlrev_b32_e32 v2, 1, v2
	v_add3_u32 v0, v3, v2, v0
	v_add_u32_e32 v10, v0, v16
	v_accvgpr_read_b32 v2, a28
	v_sub_u32_e32 v0, v59, v0
	v_ashrrev_i32_e32 v11, 31, v10
	v_accvgpr_read_b32 v3, a29
	v_lshl_add_u64 v[2:3], v[2:3], 0, v[10:11]
	v_cmp_lt_i32_e32 vcc, 1, v0
	s_mov_b64 s[14:15], 0
	s_and_saveexec_b64 s[46:47], vcc
	s_cbranch_execz .LBB4_895
; %bb.877:                              ;   in Loop: Header=BB4_518 Depth=1
	s_trap 2
	ds_read_b128 v[12:15], v0
	s_mov_b64 s[52:53], 0
	s_mov_b64 s[48:49], 0
                                        ; implicit-def: $sgpr50_sgpr51
	s_waitcnt lgkmcnt(0)
	v_lshl_add_u64 v[12:13], v[12:13], 0, v[10:11]
	v_lshl_add_u64 v[10:11], v[14:15], 0, v[10:11]
	s_branch .LBB4_879
.LBB4_878:                              ;   in Loop: Header=BB4_879 Depth=2
	s_or_b64 exec, exec, s[14:15]
	v_lshrrev_b32_e32 v14, 16, v16
	scratch_store_short off, v14, s33 offset:64
	flat_store_short v[2:3], v14 nt
	v_lshl_add_u64 v[14:15], v[12:13], 0, v[26:27]
	v_cndmask_b32_e64 v12, v12, v14, s[52:53]
	v_cndmask_b32_e64 v14, 0, v20, s[52:53]
	v_sub_u32_e32 v0, v0, v14
	v_cmp_gt_i32_e32 vcc, 2, v0
	v_mov_b32_e32 v18, 0x80
	s_or_b64 s[48:49], vcc, s[48:49]
	v_lshl_add_u64 v[16:17], v[10:11], 0, v[26:27]
	v_cndmask_b32_e64 v19, 0, v29, s[52:53]
	v_cndmask_b32_e64 v18, v18, v28, s[52:53]
	s_andn2_b64 s[14:15], s[50:51], exec
	s_and_b64 s[16:17], s[52:53], exec
	v_lshl_add_u64 v[2:3], v[2:3], 0, v[18:19]
	v_cndmask_b32_e64 v11, v11, v17, s[52:53]
	v_cndmask_b32_e64 v10, v10, v16, s[52:53]
	;; [unrolled: 1-line block ×3, first 2 shown]
	s_or_b64 s[50:51], s[14:15], s[16:17]
	s_andn2_b64 exec, exec, s[48:49]
	s_cbranch_execz .LBB4_894
.LBB4_879:                              ;   Parent Loop BB4_518 Depth=1
                                        ; =>  This Loop Header: Depth=2
                                        ;       Child Loop BB4_880 Depth 3
                                        ;       Child Loop BB4_889 Depth 3
	s_add_i32 s14, s33, 64
	v_mov_b32_e32 v14, s14
	s_mov_b64 s[54:55], -1
	s_mov_b64 s[56:57], 0
.LBB4_880:                              ;   Parent Loop BB4_518 Depth=1
                                        ;     Parent Loop BB4_879 Depth=2
                                        ; =>    This Inner Loop Header: Depth=3
	s_cmp_eq_u32 s56, 1
	s_cselect_b64 vcc, -1, 0
	v_cndmask_b32_e32 v17, v13, v11, vcc
	v_cndmask_b32_e32 v16, v12, v10, vcc
	flat_load_ushort v15, v[16:17] nt
	s_cmp_eq_u32 s56, 0
	v_lshl_add_u64 v[16:17], v[16:17], 0, s[36:37]
	s_cselect_b64 s[14:15], -1, 0
	s_and_b64 s[16:17], exec, s[54:55]
	v_cndmask_b32_e64 v13, v13, v17, s[14:15]
	v_cndmask_b32_e64 v12, v12, v16, s[14:15]
	s_add_i32 s14, s33, 0x60
	s_mov_b64 s[56:57], 1
	s_mov_b64 s[54:55], 0
	v_cndmask_b32_e32 v11, v11, v17, vcc
	v_cndmask_b32_e32 v10, v10, v16, vcc
	s_mov_b64 vcc, s[16:17]
	s_waitcnt vmcnt(0) lgkmcnt(0)
	scratch_store_short v14, v15, off
	v_mov_b32_e32 v14, s14
	s_cbranch_vccnz .LBB4_880
; %bb.881:                              ;   in Loop: Header=BB4_879 Depth=2
	s_and_saveexec_b64 s[14:15], s[52:53]
	s_cbranch_execz .LBB4_887
; %bb.882:                              ;   in Loop: Header=BB4_879 Depth=2
	scratch_load_ushort v14, off, s33 offset:62
	scratch_load_ushort v15, off, s33 offset:60
	s_waitcnt vmcnt(1)
	v_lshlrev_b32_e32 v14, 16, v14
	s_waitcnt vmcnt(0)
	v_lshlrev_b32_e32 v16, 16, v15
	v_pk_mul_f32 v[14:15], v[14:15], v[16:17] op_sel_hi:[0,1]
	v_and_b32_e32 v15, 0x7f800000, v14
	v_cmp_ne_u32_e32 vcc, s66, v15
                                        ; implicit-def: $vgpr16
	s_and_saveexec_b64 s[16:17], vcc
	s_xor_b64 s[16:17], exec, s[16:17]
; %bb.883:                              ;   in Loop: Header=BB4_879 Depth=2
	v_bfe_u32 v15, v14, 16, 1
	v_add3_u32 v16, v14, v15, s67
                                        ; implicit-def: $vgpr14_vgpr15
; %bb.884:                              ;   in Loop: Header=BB4_879 Depth=2
	s_andn2_saveexec_b64 s[16:17], s[16:17]
; %bb.885:                              ;   in Loop: Header=BB4_879 Depth=2
	v_or_b32_e32 v15, 0x10000, v14
	v_cmp_eq_u32_sdwa vcc, v14, v25 src0_sel:WORD_0 src1_sel:DWORD
	s_nop 1
	v_cndmask_b32_e32 v16, v15, v14, vcc
; %bb.886:                              ;   in Loop: Header=BB4_879 Depth=2
	s_or_b64 exec, exec, s[16:17]
	v_lshrrev_b32_e32 v14, 16, v16
	scratch_store_short off, v14, s33 offset:60
	flat_store_short v[2:3], v14 nt
	v_lshl_add_u64 v[2:3], v[2:3], 0, v[28:29]
.LBB4_887:                              ;   in Loop: Header=BB4_879 Depth=2
	s_or_b64 exec, exec, s[14:15]
	v_sub_u32_e32 v0, v0, v20
	v_lshl_add_u64 v[12:13], v[12:13], 0, v[26:27]
	v_lshl_add_u64 v[10:11], v[10:11], 0, v[26:27]
	v_cmp_lt_i32_e64 s[52:53], 1, v0
	s_and_saveexec_b64 s[54:55], s[52:53]
	s_cbranch_execz .LBB4_890
; %bb.888:                              ;   in Loop: Header=BB4_879 Depth=2
	s_add_i32 s14, s33, 60
	v_mov_b32_e32 v14, s14
	s_mov_b64 s[58:59], 0
	s_mov_b64 s[56:57], -1
.LBB4_889:                              ;   Parent Loop BB4_518 Depth=1
                                        ;     Parent Loop BB4_879 Depth=2
                                        ; =>    This Inner Loop Header: Depth=3
	s_cmp_eq_u32 s58, 1
	s_cselect_b64 vcc, -1, 0
	v_cndmask_b32_e32 v17, v13, v11, vcc
	v_cndmask_b32_e32 v16, v12, v10, vcc
	flat_load_ushort v15, v[16:17] nt
	s_cmp_eq_u32 s58, 0
	v_lshl_add_u64 v[16:17], v[16:17], 0, s[36:37]
	s_cselect_b64 s[14:15], -1, 0
	s_and_b64 s[16:17], exec, s[56:57]
	v_cndmask_b32_e64 v13, v13, v17, s[14:15]
	v_cndmask_b32_e64 v12, v12, v16, s[14:15]
	s_add_i32 s14, s33, 62
	s_mov_b64 s[58:59], 1
	s_mov_b64 s[56:57], 0
	v_cndmask_b32_e32 v11, v11, v17, vcc
	v_cndmask_b32_e32 v10, v10, v16, vcc
	s_mov_b64 vcc, s[16:17]
	s_waitcnt vmcnt(0) lgkmcnt(0)
	scratch_store_short v14, v15, off
	v_mov_b32_e32 v14, s14
	s_cbranch_vccnz .LBB4_889
.LBB4_890:                              ;   in Loop: Header=BB4_879 Depth=2
	s_or_b64 exec, exec, s[54:55]
	scratch_load_ushort v14, off, s33 offset:96
	scratch_load_ushort v15, off, s33 offset:64
	s_waitcnt vmcnt(0)
	v_lshlrev_b32_e32 v14, 16, v14
	v_lshlrev_b32_e32 v16, 16, v15
	v_pk_mul_f32 v[14:15], v[14:15], v[16:17] op_sel_hi:[0,1]
	v_and_b32_e32 v15, 0x7f800000, v14
	v_cmp_ne_u32_e32 vcc, s66, v15
                                        ; implicit-def: $vgpr16
	s_and_saveexec_b64 s[14:15], vcc
	s_xor_b64 s[14:15], exec, s[14:15]
; %bb.891:                              ;   in Loop: Header=BB4_879 Depth=2
	v_bfe_u32 v15, v14, 16, 1
	v_add3_u32 v16, v14, v15, s67
                                        ; implicit-def: $vgpr14_vgpr15
; %bb.892:                              ;   in Loop: Header=BB4_879 Depth=2
	s_andn2_saveexec_b64 s[14:15], s[14:15]
	s_cbranch_execz .LBB4_878
; %bb.893:                              ;   in Loop: Header=BB4_879 Depth=2
	v_or_b32_e32 v15, 0x10000, v14
	v_cmp_eq_u32_sdwa vcc, v14, v25 src0_sel:WORD_0 src1_sel:DWORD
	s_nop 1
	v_cndmask_b32_e32 v16, v15, v14, vcc
	s_branch .LBB4_878
.LBB4_894:                              ;   in Loop: Header=BB4_518 Depth=1
	s_or_b64 exec, exec, s[48:49]
	s_and_b64 s[14:15], s[50:51], exec
.LBB4_895:                              ;   in Loop: Header=BB4_518 Depth=1
	s_or_b64 exec, exec, s[46:47]
	s_and_b64 exec, exec, s[14:15]
	s_cbranch_execz .LBB4_901
; %bb.896:                              ;   in Loop: Header=BB4_518 Depth=1
	scratch_load_ushort v0, off, s33 offset:62
	scratch_load_ushort v10, off, s33 offset:60
	s_waitcnt vmcnt(0)
	v_lshlrev_b32_e32 v0, 16, v0
	v_lshlrev_b32_e32 v10, 16, v10
	v_pk_mul_f32 v[10:11], v[0:1], v[10:11] op_sel_hi:[0,1]
	v_and_b32_e32 v0, 0x7f800000, v10
	v_cmp_ne_u32_e32 vcc, s66, v0
                                        ; implicit-def: $vgpr0
	s_and_saveexec_b64 s[14:15], vcc
	s_xor_b64 s[14:15], exec, s[14:15]
; %bb.897:                              ;   in Loop: Header=BB4_518 Depth=1
	v_bfe_u32 v0, v10, 16, 1
	v_add3_u32 v0, v10, v0, s67
                                        ; implicit-def: $vgpr10_vgpr11
; %bb.898:                              ;   in Loop: Header=BB4_518 Depth=1
	s_andn2_saveexec_b64 s[14:15], s[14:15]
; %bb.899:                              ;   in Loop: Header=BB4_518 Depth=1
	v_or_b32_e32 v0, 0x10000, v10
	v_cmp_eq_u32_sdwa vcc, v10, v25 src0_sel:WORD_0 src1_sel:DWORD
	s_nop 1
	v_cndmask_b32_e32 v0, v0, v10, vcc
; %bb.900:                              ;   in Loop: Header=BB4_518 Depth=1
	s_or_b64 exec, exec, s[14:15]
	flat_store_short_d16_hi v[2:3], v0 nt
.LBB4_901:                              ;   in Loop: Header=BB4_518 Depth=1
	s_or_b64 exec, exec, s[18:19]
	v_accvgpr_read_b32 v0, a26
	v_cmp_ne_u32_e64 s[14:15], 0, v0
.LBB4_902:                              ;   in Loop: Header=BB4_518 Depth=1
	s_and_saveexec_b64 s[16:17], s[4:5]
	s_cbranch_execz .LBB4_921
; %bb.903:                              ;   in Loop: Header=BB4_518 Depth=1
	s_and_saveexec_b64 s[18:19], s[28:29]
	s_xor_b64 s[18:19], exec, s[18:19]
	s_cbranch_execz .LBB4_918
; %bb.904:                              ;   in Loop: Header=BB4_518 Depth=1
	s_and_saveexec_b64 s[46:47], s[6:7]
	s_cbranch_execz .LBB4_917
; %bb.905:                              ;   in Loop: Header=BB4_518 Depth=1
	s_mov_b64 s[50:51], exec
	v_mbcnt_lo_u32_b32 v0, s50, 0
	v_mbcnt_hi_u32_b32 v0, s51, v0
	v_cmp_eq_u32_e32 vcc, 0, v0
	s_waitcnt lgkmcnt(0)
	s_and_saveexec_b64 s[48:49], vcc
	s_cbranch_execz .LBB4_907
; %bb.906:                              ;   in Loop: Header=BB4_518 Depth=1
	s_bcnt1_i32_b64 vcc_lo, s[50:51]
	v_mov_b32_e32 v24, vcc_lo
	ds_add_u64 v0, v[24:25]
	s_trap 2
.LBB4_907:                              ;   in Loop: Header=BB4_518 Depth=1
	s_or_b64 exec, exec, s[48:49]
	s_trap 2
	ds_read_b64 v[2:3], v0
	v_lshl_add_u64 v[32:33], v[32:33], 0, v[22:23]
	s_waitcnt lgkmcnt(0)
	v_cmp_lt_u64_e32 vcc, v[2:3], v[32:33]
	s_and_saveexec_b64 s[48:49], vcc
	s_cbranch_execz .LBB4_916
; %bb.908:                              ;   in Loop: Header=BB4_518 Depth=1
	s_mov_b32 s60, 0
	s_mov_b64 s[50:51], 0
                                        ; implicit-def: $sgpr52_sgpr53
                                        ; implicit-def: $sgpr54_sgpr55
	s_branch .LBB4_910
.LBB4_909:                              ;   in Loop: Header=BB4_910 Depth=2
	s_or_b64 exec, exec, s[58:59]
	s_and_b64 vcc, exec, vcc
	s_or_b64 s[50:51], vcc, s[50:51]
	s_andn2_b64 vcc, s[52:53], exec
	s_and_b64 s[52:53], s[54:55], exec
	s_or_b64 s[52:53], vcc, s[52:53]
	s_andn2_b64 exec, exec, s[50:51]
	s_cbranch_execz .LBB4_914
.LBB4_910:                              ;   Parent Loop BB4_518 Depth=1
                                        ; =>  This Inner Loop Header: Depth=2
	s_add_i32 s60, s60, 1
	s_cmpk_lg_i32 s60, 0x2710
	s_cselect_b64 s[56:57], -1, 0
	s_and_b64 vcc, exec, s[56:57]
                                        ; implicit-def: $sgpr58_sgpr59
	s_cbranch_vccnz .LBB4_912
; %bb.911:                              ;   in Loop: Header=BB4_910 Depth=2
	s_trap 2
	ds_read_b64 v[2:3], v0
	s_andn2_b64 s[56:57], s[56:57], exec
	s_mov_b32 s60, 0
	s_mov_b64 s[58:59], -1
	s_waitcnt vmcnt(0) lgkmcnt(0)
	flat_load_dword v0, v[2:3] sc0 sc1
	s_waitcnt vmcnt(0) lgkmcnt(0)
	buffer_inv sc0 sc1
	v_cmp_eq_u32_e32 vcc, 0, v0
	s_and_b64 vcc, vcc, exec
	s_or_b64 s[56:57], s[56:57], vcc
.LBB4_912:                              ;   in Loop: Header=BB4_910 Depth=2
	s_andn2_b64 s[54:55], s[54:55], exec
	s_and_b64 s[58:59], s[58:59], exec
	s_mov_b64 vcc, -1
	s_or_b64 s[54:55], s[54:55], s[58:59]
	s_and_saveexec_b64 s[58:59], s[56:57]
	s_cbranch_execz .LBB4_909
; %bb.913:                              ;   in Loop: Header=BB4_910 Depth=2
	s_sleep 1
	s_trap 2
	ds_read_b64 v[2:3], v0
	s_andn2_b64 s[54:55], s[54:55], exec
	s_waitcnt lgkmcnt(0)
	v_cmp_ge_u64_e32 vcc, v[2:3], v[32:33]
	s_orn2_b64 vcc, vcc, exec
	s_branch .LBB4_909
.LBB4_914:                              ;   in Loop: Header=BB4_518 Depth=1
	s_or_b64 exec, exec, s[50:51]
	s_and_saveexec_b64 vcc, s[52:53]
	s_xor_b64 vcc, exec, vcc
	s_cbranch_execz .LBB4_916
; %bb.915:                              ;   in Loop: Header=BB4_518 Depth=1
	v_mov_b32_e32 v0, 1
	ds_write_b32 v0, v0
	s_trap 2
.LBB4_916:                              ;   in Loop: Header=BB4_518 Depth=1
	s_or_b64 exec, exec, s[48:49]
	;;#ASMSTART
	s_wakeup
	;;#ASMEND
.LBB4_917:                              ;   in Loop: Header=BB4_518 Depth=1
	s_or_b64 exec, exec, s[46:47]
.LBB4_918:                              ;   in Loop: Header=BB4_518 Depth=1
	s_andn2_saveexec_b64 s[18:19], s[18:19]
	s_cbranch_execz .LBB4_920
; %bb.919:                              ;   in Loop: Header=BB4_518 Depth=1
	s_waitcnt lgkmcnt(0)
	s_barrier
.LBB4_920:                              ;   in Loop: Header=BB4_518 Depth=1
	s_or_b64 exec, exec, s[18:19]
.LBB4_921:                              ;   in Loop: Header=BB4_518 Depth=1
	s_or_b64 exec, exec, s[16:17]
	v_and_b32_e32 v0, 16, v62
	v_cmp_ne_u32_e32 vcc, 0, v0
	s_and_b64 s[16:17], vcc, s[14:15]
	s_and_saveexec_b64 s[14:15], s[16:17]
	s_cbranch_execz .LBB4_923
; %bb.922:                              ;   in Loop: Header=BB4_518 Depth=1
	buffer_wbl2 sc1
	s_waitcnt vmcnt(0) lgkmcnt(0)
	buffer_inv sc1
.LBB4_923:                              ;   in Loop: Header=BB4_518 Depth=1
	s_or_b64 exec, exec, s[14:15]
	v_and_b32_e32 v0, 32, v62
	v_cmp_ne_u32_e32 vcc, 0, v0
	s_and_saveexec_b64 s[14:15], vcc
	s_cbranch_execz .LBB4_925
; %bb.924:                              ;   in Loop: Header=BB4_518 Depth=1
	v_lshl_add_u64 v[8:9], v[8:9], 0, 1
	flat_store_dwordx2 v[34:35], v[8:9] sc0 sc1
.LBB4_925:                              ;   in Loop: Header=BB4_518 Depth=1
	s_or_b64 exec, exec, s[14:15]
	v_mov_b32_e32 v12, v60
.LBB4_926:                              ;   in Loop: Header=BB4_518 Depth=1
	s_or_b64 exec, exec, s[44:45]
	s_and_saveexec_b64 s[16:17], s[42:43]
	s_cbranch_execz .LBB4_517
; %bb.927:                              ;   in Loop: Header=BB4_518 Depth=1
	v_and_b32_e32 v0, 4, v62
	v_cmp_ne_u32_e32 vcc, 0, v0
	s_mov_b64 s[18:19], -1
	v_lshl_add_u64 v[2:3], v[8:9], 0, 1
	s_and_saveexec_b64 s[14:15], vcc
	s_cbranch_execnz .LBB4_930
; %bb.928:                              ;   in Loop: Header=BB4_518 Depth=1
	s_or_b64 exec, exec, s[14:15]
	s_xor_b64 s[14:15], s[18:19], -1
	s_and_saveexec_b64 s[18:19], s[14:15]
	s_cbranch_execnz .LBB4_941
.LBB4_929:                              ;   in Loop: Header=BB4_518 Depth=1
	s_or_b64 exec, exec, s[18:19]
	s_and_saveexec_b64 s[14:15], s[4:5]
	s_cbranch_execnz .LBB4_950
	s_branch .LBB4_968
.LBB4_930:                              ;   in Loop: Header=BB4_518 Depth=1
	v_lshl_add_u64 v[10:11], v[8:9], 0, 1
	v_cmp_lt_u64_e32 vcc, v[38:39], v[10:11]
	v_mov_b32_e32 v0, 1
	s_and_saveexec_b64 s[18:19], vcc
	s_cbranch_execz .LBB4_940
; %bb.931:                              ;   in Loop: Header=BB4_518 Depth=1
	s_mov_b64 s[42:43], 0
	v_mov_b32_e32 v0, 0
                                        ; implicit-def: $sgpr44_sgpr45
	s_branch .LBB4_935
.LBB4_932:                              ;   in Loop: Header=BB4_935 Depth=2
	s_or_b64 exec, exec, s[52:53]
	v_mov_b32_e32 v13, 0
	s_orn2_b64 s[50:51], s[50:51], exec
.LBB4_933:                              ;   in Loop: Header=BB4_935 Depth=2
	s_or_b64 exec, exec, s[48:49]
	s_andn2_b64 vcc, s[44:45], exec
	s_and_b64 s[44:45], s[50:51], exec
	s_or_b64 s[44:45], vcc, s[44:45]
	v_mov_b32_e32 v0, v13
.LBB4_934:                              ;   in Loop: Header=BB4_935 Depth=2
	s_or_b64 exec, exec, s[46:47]
	s_waitcnt vmcnt(0) lgkmcnt(0)
	v_cmp_ge_u64_e32 vcc, v[38:39], v[10:11]
	s_xor_b64 s[46:47], s[44:45], -1
	s_or_b64 vcc, s[46:47], vcc
	s_and_b64 vcc, exec, vcc
	s_or_b64 s[42:43], vcc, s[42:43]
	s_andn2_b64 exec, exec, s[42:43]
	s_cbranch_execz .LBB4_939
.LBB4_935:                              ;   Parent Loop BB4_518 Depth=1
                                        ; =>  This Inner Loop Header: Depth=2
	s_sleep 1
	flat_load_dwordx2 v[38:39], v[34:35] sc0 sc1
	v_and_b32_e32 v13, 64, v62
	v_cmp_eq_u32_e32 vcc, 0, v13
	s_andn2_b64 s[44:45], s[44:45], exec
	s_and_saveexec_b64 s[46:47], vcc
	s_cbranch_execz .LBB4_934
; %bb.936:                              ;   in Loop: Header=BB4_935 Depth=2
	v_add_u32_e32 v13, 1, v0
	v_cmp_lt_i32_e32 vcc, s65, v0
	s_mov_b64 s[50:51], -1
	s_and_saveexec_b64 s[48:49], vcc
	s_cbranch_execz .LBB4_933
; %bb.937:                              ;   in Loop: Header=BB4_935 Depth=2
	s_trap 2
	ds_read_b64 v[14:15], v0
	s_waitcnt vmcnt(0) lgkmcnt(0)
	flat_load_dword v0, v[14:15] sc0 sc1
	s_waitcnt vmcnt(0) lgkmcnt(0)
	buffer_inv sc0 sc1
	v_cmp_ne_u32_e32 vcc, 0, v0
	s_and_saveexec_b64 s[52:53], vcc
	s_cbranch_execz .LBB4_932
; %bb.938:                              ;   in Loop: Header=BB4_935 Depth=2
	v_or_b32_e32 v62, 64, v62
	s_xor_b64 s[50:51], exec, -1
	ds_write_b32 v0, v0
	s_trap 2
	s_branch .LBB4_932
.LBB4_939:                              ;   in Loop: Header=BB4_518 Depth=1
	s_or_b64 exec, exec, s[42:43]
	v_and_b32_e32 v0, 4, v62
.LBB4_940:                              ;   in Loop: Header=BB4_518 Depth=1
	s_or_b64 exec, exec, s[18:19]
	v_cmp_eq_u32_e32 vcc, 0, v0
	s_orn2_b64 s[18:19], vcc, exec
	;;#ASMSTART
	s_wakeup
	;;#ASMEND
	s_or_b64 exec, exec, s[14:15]
	s_xor_b64 s[14:15], s[18:19], -1
	s_and_saveexec_b64 s[18:19], s[14:15]
	s_cbranch_execz .LBB4_929
.LBB4_941:                              ;   in Loop: Header=BB4_518 Depth=1
	v_and_b32_e32 v0, 0x100, v62
	v_cmp_ne_u32_e32 vcc, 0, v0
	v_and_b32_e32 v0, 7, v8
	s_mov_b64 s[14:15], -1
                                        ; implicit-def: $vgpr8_vgpr9
	s_and_saveexec_b64 s[42:43], vcc
	s_cbranch_execz .LBB4_945
; %bb.942:                              ;   in Loop: Header=BB4_518 Depth=1
	v_mad_u64_u32 v[10:11], s[14:15], v0, 24, v[6:7]
	flat_load_dword v8, v[10:11]
	s_waitcnt vmcnt(0) lgkmcnt(0)
	v_cmp_ne_u32_e32 vcc, 1, v8
	v_cmp_eq_u32_e64 s[14:15], 1, v8
                                        ; implicit-def: $vgpr8_vgpr9
	s_and_saveexec_b64 s[44:45], s[14:15]
	s_cbranch_execz .LBB4_944
; %bb.943:                              ;   in Loop: Header=BB4_518 Depth=1
	flat_load_dword v8, v[10:11] offset:4 sc0 sc1
	s_waitcnt vmcnt(0) lgkmcnt(0)
	v_ashrrev_i32_e32 v9, 31, v8
	v_lshrrev_b64 v[8:9], 1, v[8:9]
.LBB4_944:                              ;   in Loop: Header=BB4_518 Depth=1
	s_or_b64 exec, exec, s[44:45]
	s_orn2_b64 s[14:15], vcc, exec
.LBB4_945:                              ;   in Loop: Header=BB4_518 Depth=1
	s_or_b64 exec, exec, s[42:43]
	s_and_saveexec_b64 vcc, s[14:15]
; %bb.946:                              ;   in Loop: Header=BB4_518 Depth=1
	v_accvgpr_read_b32 v8, a10
	v_mad_i64_i32 v[8:9], s[14:15], v0, v8, 0
; %bb.947:                              ;   in Loop: Header=BB4_518 Depth=1
	s_or_b64 exec, exec, vcc
	v_accvgpr_read_b32 v10, a12
	v_accvgpr_read_b32 v11, a13
	v_lshl_add_u64 v[8:9], v[8:9], 1, v[10:11]
	ds_write_b64 v0, v[8:9] offset:728
	v_and_b32_e32 v0, 0x2000, v62
	v_cmp_ne_u32_e32 vcc, 0, v0
	s_and_saveexec_b64 s[14:15], vcc
	s_cbranch_execz .LBB4_949
; %bb.948:                              ;   in Loop: Header=BB4_518 Depth=1
	ds_read_b64 v[8:9], v0 offset:584
	s_waitcnt lgkmcnt(0)
	v_lshl_add_u64 v[8:9], v[8:9], 0, 1
	ds_write_b64 v0, v[8:9] offset:584
.LBB4_949:                              ;   in Loop: Header=BB4_518 Depth=1
	s_or_b64 exec, exec, s[14:15]
	v_mov_b64_e32 v[8:9], v[2:3]
	s_or_b64 exec, exec, s[18:19]
	s_and_saveexec_b64 s[14:15], s[4:5]
	s_cbranch_execz .LBB4_968
.LBB4_950:                              ;   in Loop: Header=BB4_518 Depth=1
	s_and_saveexec_b64 s[18:19], s[28:29]
	s_xor_b64 s[18:19], exec, s[18:19]
	s_cbranch_execz .LBB4_965
; %bb.951:                              ;   in Loop: Header=BB4_518 Depth=1
	s_and_saveexec_b64 s[42:43], s[6:7]
	s_cbranch_execz .LBB4_964
; %bb.952:                              ;   in Loop: Header=BB4_518 Depth=1
	s_mov_b64 s[46:47], exec
	v_mbcnt_lo_u32_b32 v0, s46, 0
	v_mbcnt_hi_u32_b32 v0, s47, v0
	v_cmp_eq_u32_e32 vcc, 0, v0
	s_waitcnt lgkmcnt(0)
	s_and_saveexec_b64 s[44:45], vcc
	s_cbranch_execz .LBB4_954
; %bb.953:                              ;   in Loop: Header=BB4_518 Depth=1
	s_bcnt1_i32_b64 vcc_lo, s[46:47]
	v_mov_b32_e32 v24, vcc_lo
	ds_add_u64 v0, v[24:25]
	s_trap 2
.LBB4_954:                              ;   in Loop: Header=BB4_518 Depth=1
	s_or_b64 exec, exec, s[44:45]
	s_trap 2
	ds_read_b64 v[2:3], v0
	v_lshl_add_u64 v[32:33], v[32:33], 0, v[22:23]
	s_waitcnt lgkmcnt(0)
	v_cmp_lt_u64_e32 vcc, v[2:3], v[32:33]
	s_and_saveexec_b64 s[44:45], vcc
	s_cbranch_execz .LBB4_963
; %bb.955:                              ;   in Loop: Header=BB4_518 Depth=1
	s_mov_b32 s56, 0
	s_mov_b64 s[46:47], 0
                                        ; implicit-def: $sgpr48_sgpr49
                                        ; implicit-def: $sgpr50_sgpr51
	s_branch .LBB4_957
.LBB4_956:                              ;   in Loop: Header=BB4_957 Depth=2
	s_or_b64 exec, exec, s[54:55]
	s_and_b64 vcc, exec, vcc
	s_or_b64 s[46:47], vcc, s[46:47]
	s_andn2_b64 vcc, s[48:49], exec
	s_and_b64 s[48:49], s[50:51], exec
	s_or_b64 s[48:49], vcc, s[48:49]
	s_andn2_b64 exec, exec, s[46:47]
	s_cbranch_execz .LBB4_961
.LBB4_957:                              ;   Parent Loop BB4_518 Depth=1
                                        ; =>  This Inner Loop Header: Depth=2
	s_add_i32 s56, s56, 1
	s_cmpk_lg_i32 s56, 0x2710
	s_cselect_b64 s[52:53], -1, 0
	s_and_b64 vcc, exec, s[52:53]
                                        ; implicit-def: $sgpr54_sgpr55
	s_cbranch_vccnz .LBB4_959
; %bb.958:                              ;   in Loop: Header=BB4_957 Depth=2
	s_trap 2
	ds_read_b64 v[2:3], v0
	s_andn2_b64 s[52:53], s[52:53], exec
	s_mov_b32 s56, 0
	s_mov_b64 s[54:55], -1
	s_waitcnt vmcnt(0) lgkmcnt(0)
	flat_load_dword v0, v[2:3] sc0 sc1
	s_waitcnt vmcnt(0) lgkmcnt(0)
	buffer_inv sc0 sc1
	v_cmp_eq_u32_e32 vcc, 0, v0
	s_and_b64 vcc, vcc, exec
	s_or_b64 s[52:53], s[52:53], vcc
.LBB4_959:                              ;   in Loop: Header=BB4_957 Depth=2
	s_andn2_b64 s[50:51], s[50:51], exec
	s_and_b64 s[54:55], s[54:55], exec
	s_mov_b64 vcc, -1
	s_or_b64 s[50:51], s[50:51], s[54:55]
	s_and_saveexec_b64 s[54:55], s[52:53]
	s_cbranch_execz .LBB4_956
; %bb.960:                              ;   in Loop: Header=BB4_957 Depth=2
	s_sleep 1
	s_trap 2
	ds_read_b64 v[2:3], v0
	s_andn2_b64 s[50:51], s[50:51], exec
	s_waitcnt lgkmcnt(0)
	v_cmp_ge_u64_e32 vcc, v[2:3], v[32:33]
	s_orn2_b64 vcc, vcc, exec
	s_branch .LBB4_956
.LBB4_961:                              ;   in Loop: Header=BB4_518 Depth=1
	s_or_b64 exec, exec, s[46:47]
	s_and_saveexec_b64 vcc, s[48:49]
	s_xor_b64 vcc, exec, vcc
	s_cbranch_execz .LBB4_963
; %bb.962:                              ;   in Loop: Header=BB4_518 Depth=1
	v_mov_b32_e32 v0, 1
	ds_write_b32 v0, v0
	s_trap 2
.LBB4_963:                              ;   in Loop: Header=BB4_518 Depth=1
	s_or_b64 exec, exec, s[44:45]
	;;#ASMSTART
	s_wakeup
	;;#ASMEND
.LBB4_964:                              ;   in Loop: Header=BB4_518 Depth=1
	s_or_b64 exec, exec, s[42:43]
.LBB4_965:                              ;   in Loop: Header=BB4_518 Depth=1
	s_andn2_saveexec_b64 s[18:19], s[18:19]
	s_cbranch_execz .LBB4_967
; %bb.966:                              ;   in Loop: Header=BB4_518 Depth=1
	s_waitcnt lgkmcnt(0)
	s_barrier
.LBB4_967:                              ;   in Loop: Header=BB4_518 Depth=1
	s_or_b64 exec, exec, s[18:19]
.LBB4_968:                              ;   in Loop: Header=BB4_518 Depth=1
	s_or_b64 exec, exec, s[14:15]
	s_trap 2
	ds_read_b32 v0, v0
	v_sub_u32_e32 v2, v58, v12
	v_min_i32_e32 v2, v60, v2
	v_cmp_lt_i32_e32 vcc, 0, v2
	s_waitcnt lgkmcnt(0)
	v_readfirstlane_b32 s14, v0
	s_cmp_eq_u32 s14, 0
	s_cselect_b64 s[14:15], -1, 0
	v_and_b32_e32 v0, 16, v62
	s_and_b64 s[14:15], vcc, s[14:15]
	v_cmp_ne_u32_e32 vcc, 0, v0
	s_and_b64 s[18:19], vcc, s[14:15]
	s_and_saveexec_b64 s[14:15], s[18:19]
	s_cbranch_execz .LBB4_970
; %bb.969:                              ;   in Loop: Header=BB4_518 Depth=1
	buffer_wbl2 sc1
	s_waitcnt vmcnt(0)
	buffer_inv sc1
.LBB4_970:                              ;   in Loop: Header=BB4_518 Depth=1
	s_or_b64 exec, exec, s[14:15]
	v_and_b32_e32 v0, 32, v62
	v_cmp_ne_u32_e32 vcc, 0, v0
	s_and_saveexec_b64 s[14:15], vcc
	s_cbranch_execz .LBB4_516
; %bb.971:                              ;   in Loop: Header=BB4_518 Depth=1
	v_lshl_add_u64 v[8:9], v[8:9], 0, 1
	flat_store_dwordx2 v[34:35], v[8:9] sc0 sc1
	s_branch .LBB4_516
.LBB4_972:
	s_or_b64 exec, exec, s[38:39]
	v_accvgpr_read_b32 v25, a3
	v_accvgpr_read_b32 v22, a0
	;; [unrolled: 1-line block ×5, first 2 shown]
.LBB4_973:
	s_or_b64 exec, exec, s[22:23]
.LBB4_974:
	s_or_b64 exec, exec, s[20:21]
                                        ; implicit-def: $agpr4_agpr5
                                        ; implicit-def: $vgpr4_vgpr5
                                        ; implicit-def: $agpr14_agpr15
                                        ; implicit-def: $agpr10
                                        ; implicit-def: $vgpr38_vgpr39
                                        ; implicit-def: $agpr12_agpr13
                                        ; implicit-def: $vgpr34_vgpr35
                                        ; implicit-def: $vgpr27
                                        ; implicit-def: $vgpr0
                                        ; implicit-def: $vgpr50_vgpr51
.LBB4_975:
	s_andn2_saveexec_b64 s[18:19], s[26:27]
	s_cbranch_execz .LBB4_1177
; %bb.976:
	s_mov_b64 s[22:23], 0
	v_cmp_ne_u64_e32 vcc, 0, v[4:5]
	v_mov_b64_e32 v[32:33], 0
	s_and_saveexec_b64 s[20:21], vcc
	s_cbranch_execz .LBB4_1176
; %bb.977:
	v_and_b32_e32 v1, 63, v31
	v_cmp_eq_u32_e64 s[6:7], 0, v1
	v_ashrrev_i32_e32 v1, 31, v27
	v_lshrrev_b32_e32 v1, 26, v1
	v_add_u32_e32 v1, v27, v1
	v_and_b32_e32 v2, 0xffffffc0, v1
	v_sub_u32_e32 v2, v27, v2
	v_cmp_lt_i32_e64 s[12:13], v2, v0
	v_ashrrev_i32_e32 v37, 6, v1
	v_lshlrev_b32_e32 v0, 4, v2
	v_lshl_add_u32 v0, v37, 11, v0
	v_ashrrev_i32_e32 v1, 31, v0
	v_accvgpr_write_b32 a17, v1
	v_lshrrev_b32_e32 v48, 6, v23
	v_accvgpr_write_b32 a16, v0
	v_mov_b32_e32 v0, 0xfffff800
	v_lshl_add_u32 v0, v48, 11, v0
	v_ashrrev_i32_e32 v1, 31, v0
	s_mov_b64 s[28:29], 0x800
	v_accvgpr_write_b32 a19, v1
	v_cmp_gt_i32_e64 s[10:11], 1, v2
	v_accvgpr_write_b32 a3, v2
	v_accvgpr_write_b32 a18, v0
	v_lshl_add_u64 v[44:45], v[0:1], 0, s[28:29]
	s_waitcnt lgkmcnt(0)
	v_accvgpr_read_b32 v2, a14
	v_mov_b32_e32 v1, 0xfffffe00
	v_accvgpr_read_b32 v3, a15
	v_lshl_add_u32 v58, v48, 9, v1
	v_lshlrev_b32_e32 v1, 7, v48
	v_lshlrev_b32_e32 v0, 10, v48
	v_cmp_ne_u64_e64 s[14:15], 0, v[2:3]
	v_add_u32_e32 v2, 0xffffff80, v1
	s_lshr_b32 s2, s68, 27
	v_add_u32_e32 v52, 0xfffffc00, v0
	v_ashrrev_i32_e32 v3, 31, v2
	v_accvgpr_write_b32 a8, v24
	s_add_i32 s68, s68, s2
	v_cmp_eq_u32_e32 vcc, 64, v23
	v_mov_b32_e32 v55, 0
	v_ashrrev_i32_e32 v53, 31, v52
	s_mov_b64 s[30:31], 0x400
	v_ashrrev_i32_e32 v59, 31, v58
	s_mov_b64 s[34:35], 0x200
	s_mov_b64 s[36:37], 0x80
	v_accvgpr_write_b32 a23, v3
	v_mov_b64_e32 v[28:29], 0
	v_accvgpr_write_b32 a9, v25
	s_ashr_i32 s62, s68, 5
	v_cmp_ge_i32_e64 s[2:3], v27, v23
	v_cmp_ne_u32_e64 s[4:5], 64, v23
	v_accvgpr_write_b32 a2, v22
	v_cmp_ne_u32_sdwa s[26:27], v22, v23 src0_sel:WORD_0 src1_sel:DWORD
	v_accvgpr_write_b32 a0, v31
	v_accvgpr_write_b32 a1, v23
	v_mov_b32_e32 v49, v55
	v_lshl_add_u64 v[56:57], v[52:53], 0, s[30:31]
	v_lshl_add_u64 v[60:61], v[58:59], 0, s[34:35]
	v_accvgpr_write_b32 a22, v2
	v_lshl_add_u64 v[40:41], v[2:3], 0, s[36:37]
	s_movk_i32 s63, 0x270e
	s_xor_b64 s[38:39], vcc, -1
	v_mov_b64_e32 v[32:33], v[28:29]
	s_trap 2
	s_branch .LBB4_981
.LBB4_978:                              ;   in Loop: Header=BB4_981 Depth=1
	s_or_b64 exec, exec, vcc
	v_lshl_add_u64 v[8:9], v[8:9], 0, 1
	flat_store_dwordx2 v[34:35], v[8:9] sc0 sc1
.LBB4_979:                              ;   in Loop: Header=BB4_981 Depth=1
	s_or_b64 exec, exec, s[16:17]
.LBB4_980:                              ;   in Loop: Header=BB4_981 Depth=1
	s_or_b64 exec, exec, s[42:43]
	v_lshl_add_u64 v[28:29], v[28:29], 0, v[50:51]
	v_cmp_ge_u64_e32 vcc, v[28:29], v[4:5]
	s_or_b64 s[22:23], vcc, s[22:23]
	s_andn2_b64 exec, exec, s[22:23]
	s_cbranch_execz .LBB4_1175
.LBB4_981:                              ; =>This Loop Header: Depth=1
                                        ;     Child Loop BB4_990 Depth 2
                                        ;     Child Loop BB4_1014 Depth 2
	;; [unrolled: 1-line block ×10, first 2 shown]
	v_sub_co_u32_e32 v2, vcc, v4, v28
	v_mov_b32_e32 v14, 0
	s_nop 0
	v_subb_co_u32_e32 v3, vcc, v5, v29, vcc
	v_cmp_lt_u64_e32 vcc, v[50:51], v[2:3]
	s_nop 1
	v_cndmask_b32_e64 v31, v3, 0, vcc
	v_cndmask_b32_e32 v30, v2, v50, vcc
	v_add_u32_e32 v2, 15, v30
	v_cmp_eq_u64_e32 vcc, 0, v[30:31]
	v_and_b32_e32 v2, 0x3ffffff0, v2
	s_or_b64 s[40:41], s[2:3], vcc
	v_max_i32_e32 v46, s62, v2
	s_xor_b64 s[16:17], s[40:41], -1
	s_and_saveexec_b64 s[42:43], s[16:17]
	s_cbranch_execz .LBB4_1128
; %bb.982:                              ;   in Loop: Header=BB4_981 Depth=1
	s_and_saveexec_b64 s[16:17], s[0:1]
	s_cbranch_execz .LBB4_984
; %bb.983:                              ;   in Loop: Header=BB4_981 Depth=1
	s_trap 2
	ds_read_b64 v[2:3], v0
	v_accvgpr_read_b32 v11, a5
	v_accvgpr_read_b32 v10, a4
	v_mov_b32_e32 v54, v55
	s_waitcnt lgkmcnt(0)
	v_lshl_add_u64 v[2:3], v[10:11], 1, v[2:3]
	v_lshl_add_u64 v[2:3], v[28:29], 1, v[2:3]
	ds_write_b64 v0, v[2:3]
	ds_write_b64 v0, v[54:55]
.LBB4_984:                              ;   in Loop: Header=BB4_981 Depth=1
	s_or_b64 exec, exec, s[16:17]
	v_and_b32_e32 v2, 8, v62
	v_cmp_ne_u32_e32 vcc, 0, v2
	s_mov_b64 s[44:45], -1
	v_lshl_add_u64 v[10:11], v[8:9], 0, 1
	s_and_saveexec_b64 s[16:17], vcc
	s_cbranch_execz .LBB4_996
; %bb.985:                              ;   in Loop: Header=BB4_981 Depth=1
	v_lshl_add_u64 v[2:3], v[38:39], 0, 8
	v_lshl_add_u64 v[12:13], v[8:9], 0, 1
	v_cmp_lt_u64_e32 vcc, v[2:3], v[12:13]
	v_mov_b32_e32 v2, 1
	s_and_saveexec_b64 s[44:45], vcc
	s_cbranch_execz .LBB4_995
; %bb.986:                              ;   in Loop: Header=BB4_981 Depth=1
	s_mov_b64 s[46:47], 0
	v_mov_b32_e32 v2, 0
                                        ; implicit-def: $sgpr48_sgpr49
	s_branch .LBB4_990
.LBB4_987:                              ;   in Loop: Header=BB4_990 Depth=2
	s_or_b64 exec, exec, s[56:57]
	v_mov_b32_e32 v3, 0
	s_orn2_b64 s[54:55], s[54:55], exec
.LBB4_988:                              ;   in Loop: Header=BB4_990 Depth=2
	s_or_b64 exec, exec, s[52:53]
	s_andn2_b64 vcc, s[48:49], exec
	s_and_b64 s[48:49], s[54:55], exec
	s_or_b64 s[48:49], vcc, s[48:49]
	v_mov_b32_e32 v2, v3
.LBB4_989:                              ;   in Loop: Header=BB4_990 Depth=2
	s_or_b64 exec, exec, s[50:51]
	s_waitcnt vmcnt(0) lgkmcnt(0)
	v_lshl_add_u64 v[14:15], v[38:39], 0, 8
	v_cmp_ge_u64_e32 vcc, v[14:15], v[12:13]
	s_xor_b64 s[50:51], s[48:49], -1
	s_or_b64 vcc, s[50:51], vcc
	s_and_b64 vcc, exec, vcc
	s_or_b64 s[46:47], vcc, s[46:47]
	s_andn2_b64 exec, exec, s[46:47]
	s_cbranch_execz .LBB4_994
.LBB4_990:                              ;   Parent Loop BB4_981 Depth=1
                                        ; =>  This Inner Loop Header: Depth=2
	s_sleep 1
	flat_load_dwordx2 v[38:39], v[34:35] sc0 sc1
	v_and_b32_e32 v3, 64, v62
	v_cmp_eq_u32_e32 vcc, 0, v3
	s_andn2_b64 s[48:49], s[48:49], exec
	s_and_saveexec_b64 s[50:51], vcc
	s_cbranch_execz .LBB4_989
; %bb.991:                              ;   in Loop: Header=BB4_990 Depth=2
	v_add_u32_e32 v3, 1, v2
	v_cmp_lt_i32_e32 vcc, s63, v2
	s_mov_b64 s[54:55], -1
	s_and_saveexec_b64 s[52:53], vcc
	s_cbranch_execz .LBB4_988
; %bb.992:                              ;   in Loop: Header=BB4_990 Depth=2
	s_trap 2
	ds_read_b64 v[2:3], v0
	s_waitcnt vmcnt(0) lgkmcnt(0)
	flat_load_dword v2, v[2:3] sc0 sc1
	s_waitcnt vmcnt(0) lgkmcnt(0)
	buffer_inv sc0 sc1
	v_cmp_ne_u32_e32 vcc, 0, v2
	s_and_saveexec_b64 s[56:57], vcc
	s_cbranch_execz .LBB4_987
; %bb.993:                              ;   in Loop: Header=BB4_990 Depth=2
	v_or_b32_e32 v62, 64, v62
	s_xor_b64 s[54:55], exec, -1
	ds_write_b32 v0, v2
	s_trap 2
	s_branch .LBB4_987
.LBB4_994:                              ;   in Loop: Header=BB4_981 Depth=1
	s_or_b64 exec, exec, s[46:47]
	v_and_b32_e32 v2, 8, v62
.LBB4_995:                              ;   in Loop: Header=BB4_981 Depth=1
	s_or_b64 exec, exec, s[44:45]
	v_cmp_eq_u32_e32 vcc, 0, v2
	s_orn2_b64 s[44:45], vcc, exec
	;;#ASMSTART
	s_wakeup
	;;#ASMEND
.LBB4_996:                              ;   in Loop: Header=BB4_981 Depth=1
	s_or_b64 exec, exec, s[16:17]
	s_xor_b64 s[16:17], s[44:45], -1
	v_min_u32_e32 v46, v46, v30
	s_and_saveexec_b64 s[44:45], s[16:17]
	s_cbranch_execz .LBB4_1006
; %bb.997:                              ;   in Loop: Header=BB4_981 Depth=1
	v_and_b32_e32 v2, 0x100, v62
	v_cmp_ne_u32_e32 vcc, 0, v2
	v_and_b32_e32 v2, 7, v8
	s_mov_b64 s[16:17], -1
                                        ; implicit-def: $vgpr8_vgpr9
	s_and_saveexec_b64 s[46:47], vcc
	s_cbranch_execz .LBB4_1001
; %bb.998:                              ;   in Loop: Header=BB4_981 Depth=1
	v_mad_u64_u32 v[12:13], s[16:17], v2, 24, v[6:7]
	flat_load_dword v3, v[12:13]
	v_lshlrev_b32_e32 v54, 1, v46
	flat_store_dwordx2 v[12:13], v[54:55] offset:8
                                        ; implicit-def: $vgpr8_vgpr9
	s_waitcnt vmcnt(0) lgkmcnt(0)
	v_cmp_ne_u32_e32 vcc, 1, v3
	v_cmp_eq_u32_e64 s[16:17], 1, v3
	s_and_saveexec_b64 s[48:49], s[16:17]
	s_cbranch_execz .LBB4_1000
; %bb.999:                              ;   in Loop: Header=BB4_981 Depth=1
	flat_load_dword v8, v[12:13] offset:4 sc0 sc1
	s_waitcnt vmcnt(0) lgkmcnt(0)
	v_ashrrev_i32_e32 v9, 31, v8
	v_lshrrev_b64 v[8:9], 1, v[8:9]
.LBB4_1000:                             ;   in Loop: Header=BB4_981 Depth=1
	s_or_b64 exec, exec, s[48:49]
	s_orn2_b64 s[16:17], vcc, exec
.LBB4_1001:                             ;   in Loop: Header=BB4_981 Depth=1
	s_or_b64 exec, exec, s[46:47]
	s_and_saveexec_b64 vcc, s[16:17]
; %bb.1002:                             ;   in Loop: Header=BB4_981 Depth=1
	v_accvgpr_read_b32 v8, a10
	v_mad_i64_i32 v[8:9], s[16:17], v2, v8, 0
; %bb.1003:                             ;   in Loop: Header=BB4_981 Depth=1
	s_or_b64 exec, exec, vcc
	v_accvgpr_read_b32 v2, a12
	v_accvgpr_read_b32 v3, a13
	v_lshl_add_u64 v[2:3], v[8:9], 1, v[2:3]
	ds_write_b64 v0, v[2:3] offset:784
	v_and_b32_e32 v2, 0x2000, v62
	v_cmp_ne_u32_e32 vcc, 0, v2
	s_and_saveexec_b64 s[16:17], vcc
	s_cbranch_execz .LBB4_1005
; %bb.1004:                             ;   in Loop: Header=BB4_981 Depth=1
	ds_read_b64 v[2:3], v0 offset:584
	s_waitcnt lgkmcnt(0)
	v_lshl_add_u64 v[2:3], v[2:3], 0, 1
	ds_write_b64 v0, v[2:3] offset:584
.LBB4_1005:                             ;   in Loop: Header=BB4_981 Depth=1
	s_or_b64 exec, exec, s[16:17]
	v_mov_b64_e32 v[8:9], v[10:11]
.LBB4_1006:                             ;   in Loop: Header=BB4_981 Depth=1
	s_or_b64 exec, exec, s[44:45]
	s_and_saveexec_b64 s[16:17], s[4:5]
	s_cbranch_execz .LBB4_1025
; %bb.1007:                             ;   in Loop: Header=BB4_981 Depth=1
	s_and_saveexec_b64 vcc, s[26:27]
	s_xor_b64 s[44:45], exec, vcc
	s_cbranch_execz .LBB4_1022
; %bb.1008:                             ;   in Loop: Header=BB4_981 Depth=1
	s_and_saveexec_b64 s[46:47], s[6:7]
	s_cbranch_execz .LBB4_1021
; %bb.1009:                             ;   in Loop: Header=BB4_981 Depth=1
	s_mov_b64 s[50:51], exec
	v_mbcnt_lo_u32_b32 v2, s50, 0
	v_mbcnt_hi_u32_b32 v2, s51, v2
	v_cmp_eq_u32_e32 vcc, 0, v2
	s_waitcnt lgkmcnt(0)
	s_and_saveexec_b64 s[48:49], vcc
	s_cbranch_execz .LBB4_1011
; %bb.1010:                             ;   in Loop: Header=BB4_981 Depth=1
	s_bcnt1_i32_b64 vcc_lo, s[50:51]
	v_mov_b32_e32 v54, vcc_lo
	ds_add_u64 v0, v[54:55]
	s_trap 2
.LBB4_1011:                             ;   in Loop: Header=BB4_981 Depth=1
	s_or_b64 exec, exec, s[48:49]
	s_trap 2
	ds_read_b64 v[2:3], v0
	v_lshl_add_u64 v[32:33], v[32:33], 0, v[48:49]
	s_waitcnt lgkmcnt(0)
	v_cmp_lt_u64_e32 vcc, v[2:3], v[32:33]
	s_and_saveexec_b64 s[48:49], vcc
	s_cbranch_execz .LBB4_1020
; %bb.1012:                             ;   in Loop: Header=BB4_981 Depth=1
	s_mov_b32 s60, 0
	s_mov_b64 s[50:51], 0
                                        ; implicit-def: $sgpr52_sgpr53
                                        ; implicit-def: $sgpr54_sgpr55
	s_branch .LBB4_1014
.LBB4_1013:                             ;   in Loop: Header=BB4_1014 Depth=2
	s_or_b64 exec, exec, s[58:59]
	s_and_b64 vcc, exec, vcc
	s_or_b64 s[50:51], vcc, s[50:51]
	s_andn2_b64 vcc, s[52:53], exec
	s_and_b64 s[52:53], s[54:55], exec
	s_or_b64 s[52:53], vcc, s[52:53]
	s_andn2_b64 exec, exec, s[50:51]
	s_cbranch_execz .LBB4_1018
.LBB4_1014:                             ;   Parent Loop BB4_981 Depth=1
                                        ; =>  This Inner Loop Header: Depth=2
	s_add_i32 s60, s60, 1
	s_cmpk_lg_i32 s60, 0x2710
	s_cselect_b64 s[56:57], -1, 0
	s_and_b64 vcc, exec, s[56:57]
                                        ; implicit-def: $sgpr58_sgpr59
	s_cbranch_vccnz .LBB4_1016
; %bb.1015:                             ;   in Loop: Header=BB4_1014 Depth=2
	s_trap 2
	ds_read_b64 v[2:3], v0
	s_andn2_b64 s[56:57], s[56:57], exec
	s_mov_b32 s60, 0
	s_mov_b64 s[58:59], -1
	s_waitcnt vmcnt(0) lgkmcnt(0)
	flat_load_dword v2, v[2:3] sc0 sc1
	s_waitcnt vmcnt(0) lgkmcnt(0)
	buffer_inv sc0 sc1
	v_cmp_eq_u32_e32 vcc, 0, v2
	s_and_b64 vcc, vcc, exec
	s_or_b64 s[56:57], s[56:57], vcc
.LBB4_1016:                             ;   in Loop: Header=BB4_1014 Depth=2
	s_andn2_b64 s[54:55], s[54:55], exec
	s_and_b64 s[58:59], s[58:59], exec
	s_mov_b64 vcc, -1
	s_or_b64 s[54:55], s[54:55], s[58:59]
	s_and_saveexec_b64 s[58:59], s[56:57]
	s_cbranch_execz .LBB4_1013
; %bb.1017:                             ;   in Loop: Header=BB4_1014 Depth=2
	s_sleep 1
	s_trap 2
	ds_read_b64 v[2:3], v0
	s_andn2_b64 s[54:55], s[54:55], exec
	s_waitcnt lgkmcnt(0)
	v_cmp_ge_u64_e32 vcc, v[2:3], v[32:33]
	s_orn2_b64 vcc, vcc, exec
	s_branch .LBB4_1013
.LBB4_1018:                             ;   in Loop: Header=BB4_981 Depth=1
	s_or_b64 exec, exec, s[50:51]
	s_and_saveexec_b64 vcc, s[52:53]
	s_xor_b64 vcc, exec, vcc
	s_cbranch_execz .LBB4_1020
; %bb.1019:                             ;   in Loop: Header=BB4_981 Depth=1
	v_mov_b32_e32 v2, 1
	ds_write_b32 v0, v2
	s_trap 2
.LBB4_1020:                             ;   in Loop: Header=BB4_981 Depth=1
	s_or_b64 exec, exec, s[48:49]
	;;#ASMSTART
	s_wakeup
	;;#ASMEND
.LBB4_1021:                             ;   in Loop: Header=BB4_981 Depth=1
	s_or_b64 exec, exec, s[46:47]
.LBB4_1022:                             ;   in Loop: Header=BB4_981 Depth=1
	s_andn2_saveexec_b64 vcc, s[44:45]
	s_cbranch_execz .LBB4_1024
; %bb.1023:                             ;   in Loop: Header=BB4_981 Depth=1
	s_waitcnt lgkmcnt(0)
	s_barrier
.LBB4_1024:                             ;   in Loop: Header=BB4_981 Depth=1
	s_or_b64 exec, exec, vcc
.LBB4_1025:                             ;   in Loop: Header=BB4_981 Depth=1
	s_or_b64 exec, exec, s[16:17]
	s_trap 2
	ds_read_b32 v10, v0
	v_and_b32_e32 v2, 0x4000, v62
	v_cmp_ne_u32_e32 vcc, 0, v2
	s_and_b64 vcc, s[38:39], vcc
	s_and_saveexec_b64 s[16:17], vcc
	s_cbranch_execz .LBB4_1044
; %bb.1026:                             ;   in Loop: Header=BB4_981 Depth=1
	s_and_saveexec_b64 vcc, s[26:27]
	s_xor_b64 s[44:45], exec, vcc
	s_cbranch_execz .LBB4_1041
; %bb.1027:                             ;   in Loop: Header=BB4_981 Depth=1
	s_and_saveexec_b64 s[46:47], s[6:7]
	s_cbranch_execz .LBB4_1040
; %bb.1028:                             ;   in Loop: Header=BB4_981 Depth=1
	s_mov_b64 s[50:51], exec
	v_mbcnt_lo_u32_b32 v2, s50, 0
	v_mbcnt_hi_u32_b32 v2, s51, v2
	v_cmp_eq_u32_e32 vcc, 0, v2
	s_waitcnt lgkmcnt(0)
	s_and_saveexec_b64 s[48:49], vcc
	s_cbranch_execz .LBB4_1030
; %bb.1029:                             ;   in Loop: Header=BB4_981 Depth=1
	s_bcnt1_i32_b64 vcc_lo, s[50:51]
	v_mov_b32_e32 v54, vcc_lo
	ds_add_u64 v0, v[54:55]
	s_trap 2
.LBB4_1030:                             ;   in Loop: Header=BB4_981 Depth=1
	s_or_b64 exec, exec, s[48:49]
	s_trap 2
	ds_read_b64 v[2:3], v0
	v_lshl_add_u64 v[32:33], v[32:33], 0, v[48:49]
	s_waitcnt lgkmcnt(0)
	v_cmp_lt_u64_e32 vcc, v[2:3], v[32:33]
	s_and_saveexec_b64 s[48:49], vcc
	s_cbranch_execz .LBB4_1039
; %bb.1031:                             ;   in Loop: Header=BB4_981 Depth=1
	s_mov_b32 s60, 0
	s_mov_b64 s[50:51], 0
                                        ; implicit-def: $sgpr52_sgpr53
                                        ; implicit-def: $sgpr54_sgpr55
	s_branch .LBB4_1033
.LBB4_1032:                             ;   in Loop: Header=BB4_1033 Depth=2
	s_or_b64 exec, exec, s[58:59]
	s_and_b64 vcc, exec, vcc
	s_or_b64 s[50:51], vcc, s[50:51]
	s_andn2_b64 vcc, s[52:53], exec
	s_and_b64 s[52:53], s[54:55], exec
	s_or_b64 s[52:53], vcc, s[52:53]
	s_andn2_b64 exec, exec, s[50:51]
	s_cbranch_execz .LBB4_1037
.LBB4_1033:                             ;   Parent Loop BB4_981 Depth=1
                                        ; =>  This Inner Loop Header: Depth=2
	s_add_i32 s60, s60, 1
	s_cmpk_lg_i32 s60, 0x2710
	s_cselect_b64 s[56:57], -1, 0
	s_and_b64 vcc, exec, s[56:57]
                                        ; implicit-def: $sgpr58_sgpr59
	s_cbranch_vccnz .LBB4_1035
; %bb.1034:                             ;   in Loop: Header=BB4_1033 Depth=2
	s_trap 2
	ds_read_b64 v[2:3], v0
	s_andn2_b64 s[56:57], s[56:57], exec
	s_mov_b32 s60, 0
	s_mov_b64 s[58:59], -1
	s_waitcnt vmcnt(0) lgkmcnt(0)
	flat_load_dword v2, v[2:3] sc0 sc1
	s_waitcnt vmcnt(0) lgkmcnt(0)
	buffer_inv sc0 sc1
	v_cmp_eq_u32_e32 vcc, 0, v2
	s_and_b64 vcc, vcc, exec
	s_or_b64 s[56:57], s[56:57], vcc
.LBB4_1035:                             ;   in Loop: Header=BB4_1033 Depth=2
	s_andn2_b64 s[54:55], s[54:55], exec
	s_and_b64 s[58:59], s[58:59], exec
	s_mov_b64 vcc, -1
	s_or_b64 s[54:55], s[54:55], s[58:59]
	s_and_saveexec_b64 s[58:59], s[56:57]
	s_cbranch_execz .LBB4_1032
; %bb.1036:                             ;   in Loop: Header=BB4_1033 Depth=2
	s_sleep 1
	s_trap 2
	ds_read_b64 v[2:3], v0
	s_andn2_b64 s[54:55], s[54:55], exec
	s_waitcnt lgkmcnt(0)
	v_cmp_ge_u64_e32 vcc, v[2:3], v[32:33]
	s_orn2_b64 vcc, vcc, exec
	s_branch .LBB4_1032
.LBB4_1037:                             ;   in Loop: Header=BB4_981 Depth=1
	s_or_b64 exec, exec, s[50:51]
	s_and_saveexec_b64 vcc, s[52:53]
	s_xor_b64 vcc, exec, vcc
	s_cbranch_execz .LBB4_1039
; %bb.1038:                             ;   in Loop: Header=BB4_981 Depth=1
	v_mov_b32_e32 v2, 1
	ds_write_b32 v0, v2
	s_trap 2
.LBB4_1039:                             ;   in Loop: Header=BB4_981 Depth=1
	s_or_b64 exec, exec, s[48:49]
	;;#ASMSTART
	s_wakeup
	;;#ASMEND
.LBB4_1040:                             ;   in Loop: Header=BB4_981 Depth=1
	s_or_b64 exec, exec, s[46:47]
.LBB4_1041:                             ;   in Loop: Header=BB4_981 Depth=1
	s_andn2_saveexec_b64 vcc, s[44:45]
	s_cbranch_execz .LBB4_1043
; %bb.1042:                             ;   in Loop: Header=BB4_981 Depth=1
	s_waitcnt lgkmcnt(0)
	s_barrier
.LBB4_1043:                             ;   in Loop: Header=BB4_981 Depth=1
	s_or_b64 exec, exec, vcc
.LBB4_1044:                             ;   in Loop: Header=BB4_981 Depth=1
	s_or_b64 exec, exec, s[16:17]
	s_trap 2
	ds_read_b64 v[2:3], v0
	s_waitcnt lgkmcnt(0)
	v_readfirstlane_b32 s16, v2
	v_readfirstlane_b32 s17, v3
	s_cmp_eq_u64 s[16:17], 0
	s_cselect_b64 s[16:17], -1, 0
	s_or_b64 vcc, s[16:17], s[16:17]
	s_mov_b64 s[16:17], 0
	s_and_b64 vcc, exec, vcc
	s_cbranch_vccnz .LBB4_1102
; %bb.1045:                             ;   in Loop: Header=BB4_981 Depth=1
	s_mov_b64 s[16:17], -1
	s_and_saveexec_b64 s[44:45], s[10:11]
	s_cbranch_execz .LBB4_1047
; %bb.1046:                             ;   in Loop: Header=BB4_981 Depth=1
	ds_read_b32 v2, v0 offset:720
	s_waitcnt lgkmcnt(0)
	v_and_b32_e32 v2, 15, v2
	v_cmp_eq_u32_e32 vcc, 0, v2
	s_orn2_b64 s[16:17], vcc, exec
.LBB4_1047:                             ;   in Loop: Header=BB4_981 Depth=1
	s_or_b64 exec, exec, s[44:45]
	s_and_saveexec_b64 s[44:45], s[12:13]
	s_cbranch_execz .LBB4_1049
; %bb.1048:                             ;   in Loop: Header=BB4_981 Depth=1
	ds_read_b32 v2, v0 offset:784
	s_waitcnt lgkmcnt(0)
	v_and_b32_e32 v2, 15, v2
	v_cmp_eq_u32_e32 vcc, 0, v2
	s_and_b64 vcc, s[16:17], vcc
	s_andn2_b64 s[16:17], s[16:17], exec
	s_and_b64 vcc, vcc, exec
	s_or_b64 s[16:17], s[16:17], vcc
.LBB4_1049:                             ;   in Loop: Header=BB4_981 Depth=1
	s_or_b64 exec, exec, s[44:45]
	s_xor_b64 s[16:17], s[16:17], -1
	v_cndmask_b32_e64 v2, 0, 1, s[16:17]
	;;#ASMSTART
	;;#ASMEND
	s_trap 2
	ds_read_b64 v[26:27], v0
	v_cmp_eq_u32_e32 vcc, 0, v10
	s_mov_b64 s[16:17], -1
	s_nop 0
	v_cndmask_b32_e32 v31, 0, v46, vcc
	v_lshlrev_b32_e32 v54, 1, v31
	v_cmp_ne_u32_e32 vcc, 0, v2
	s_cbranch_vccz .LBB4_1058
; %bb.1050:                             ;   in Loop: Header=BB4_981 Depth=1
	s_mov_b64 s[44:45], -1
	s_mov_b32 s46, 0
	s_cbranch_execnz .LBB4_1059
.LBB4_1051:                             ;   in Loop: Header=BB4_981 Depth=1
	v_lshrrev_b32_e32 v47, 10, v31
	v_accvgpr_read_b32 v2, a16
	v_accvgpr_write_b32 a20, v52
	v_sub_u32_e32 v42, v47, v37
	v_accvgpr_read_b32 v3, a17
	v_accvgpr_write_b32 a21, v53
	s_waitcnt lgkmcnt(0)
	v_lshl_add_u64 v[52:53], v[26:27], 0, v[2:3]
	v_cmp_lt_i32_e32 vcc, 0, v42
	s_mov_b64 s[46:47], 0
                                        ; implicit-def: $vgpr10_vgpr11
                                        ; implicit-def: $vgpr14_vgpr15
	s_and_saveexec_b64 s[16:17], vcc
	s_cbranch_execz .LBB4_1061
; %bb.1052:                             ;   in Loop: Header=BB4_981 Depth=1
	s_trap 2
	ds_read_b64 v[2:3], v0
	v_accvgpr_read_b32 v10, a16
	v_accvgpr_read_b32 v11, a17
	v_accvgpr_write_b32 a11, v37
	s_mov_b64 s[50:51], 0
	s_waitcnt lgkmcnt(0)
	v_lshl_add_u64 v[36:37], v[2:3], 0, v[10:11]
                                        ; implicit-def: $sgpr48_sgpr49
                                        ; implicit-def: $vgpr10_vgpr11
                                        ; implicit-def: $vgpr14_vgpr15
	s_branch .LBB4_1054
.LBB4_1053:                             ;   in Loop: Header=BB4_1054 Depth=2
	s_or_b64 exec, exec, vcc
	s_waitcnt vmcnt(0)
	global_store_dwordx4 v[52:53], v[18:21], off nt
	global_store_dwordx4 v[52:53], v[22:25], off offset:1024 nt
	v_lshl_add_u64 v[36:37], v[36:37], 0, v[42:43]
	v_lshl_add_u64 v[18:19], v[52:53], 0, v[42:43]
	v_sub_u32_e32 v42, v2, v3
	v_cmp_gt_i32_e32 vcc, 1, v42
	s_or_b64 s[46:47], vcc, s[46:47]
	s_andn2_b64 vcc, s[48:49], exec
	s_and_b64 s[48:49], s[50:51], exec
	v_lshl_add_u64 v[52:53], v[18:19], 0, s[28:29]
	s_or_b64 s[48:49], vcc, s[48:49]
	s_andn2_b64 exec, exec, s[46:47]
	s_cbranch_execz .LBB4_1060
.LBB4_1054:                             ;   Parent Loop BB4_981 Depth=1
                                        ; =>  This Inner Loop Header: Depth=2
	global_load_dwordx4 v[18:21], v[36:37], off nt
	global_load_dwordx4 v[22:25], v[36:37], off offset:1024 nt
	s_and_saveexec_b64 vcc, s[50:51]
	s_cbranch_execz .LBB4_1056
; %bb.1055:                             ;   in Loop: Header=BB4_1054 Depth=2
	v_lshl_add_u64 v[2:3], v[52:53], 0, v[44:45]
	global_store_dwordx4 v[52:53], v[10:13], off nt
	global_store_dwordx4 v[52:53], v[14:17], off offset:1024 nt
	v_mov_b64_e32 v[52:53], v[2:3]
.LBB4_1056:                             ;   in Loop: Header=BB4_1054 Depth=2
	s_or_b64 exec, exec, vcc
	v_sub_u32_e32 v2, v42, v48
	v_lshl_add_u64 v[36:37], v[36:37], 0, v[44:45]
	v_cmp_lt_i32_e64 s[50:51], 0, v2
	v_mov_b32_e32 v3, 0
	v_mov_b64_e32 v[42:43], 0
	s_and_saveexec_b64 vcc, s[50:51]
	s_cbranch_execz .LBB4_1053
; %bb.1057:                             ;   in Loop: Header=BB4_1054 Depth=2
	global_load_dwordx4 v[10:13], v[36:37], off nt
	global_load_dwordx4 v[14:17], v[36:37], off offset:1024 nt
	v_accvgpr_read_b32 v43, a19
	v_lshl_add_u64 v[36:37], v[36:37], 0, s[28:29]
	v_mov_b32_e32 v3, v48
	v_accvgpr_read_b32 v42, a18
	s_branch .LBB4_1053
.LBB4_1058:                             ;   in Loop: Header=BB4_981 Depth=1
	s_mov_b64 s[44:45], 0
                                        ; implicit-def: $sgpr46
	s_andn2_b64 vcc, exec, s[16:17]
	s_cbranch_vccz .LBB4_1051
.LBB4_1059:                             ;   in Loop: Header=BB4_981 Depth=1
	v_mov_b32_e32 v16, s46
	v_accvgpr_read_b32 v17, a3
	v_mov_b32_e32 v10, v37
	s_and_saveexec_b64 s[16:17], s[44:45]
	s_cbranch_execnz .LBB4_1080
	s_branch .LBB4_1101
.LBB4_1060:                             ;   in Loop: Header=BB4_981 Depth=1
	s_or_b64 exec, exec, s[46:47]
	s_and_b64 s[46:47], s[48:49], exec
	v_accvgpr_read_b32 v37, a11
.LBB4_1061:                             ;   in Loop: Header=BB4_981 Depth=1
	s_or_b64 exec, exec, s[16:17]
	s_and_saveexec_b64 s[16:17], s[46:47]
	s_cbranch_execz .LBB4_1063
; %bb.1062:                             ;   in Loop: Header=BB4_981 Depth=1
	global_store_dwordx4 v[52:53], v[10:13], off nt
	global_store_dwordx4 v[52:53], v[14:17], off offset:1024 nt
.LBB4_1063:                             ;   in Loop: Header=BB4_981 Depth=1
	s_or_b64 exec, exec, s[16:17]
	v_lshlrev_b32_e32 v22, 11, v47
	v_cmp_ne_u32_e32 vcc, v54, v22
                                        ; implicit-def: $vgpr16
                                        ; implicit-def: $vgpr17
                                        ; implicit-def: $vgpr10
	s_and_saveexec_b64 s[46:47], vcc
	s_cbranch_execz .LBB4_1079
; %bb.1064:                             ;   in Loop: Header=BB4_981 Depth=1
	v_lshlrev_b32_e32 v3, 6, v42
	v_accvgpr_read_b32 v10, a3
	v_sub_u32_e32 v3, v10, v3
	v_ashrrev_i32_e32 v10, 31, v3
	v_lshrrev_b32_e32 v10, 26, v10
	v_add_u32_e32 v10, v3, v10
	v_ashrrev_i32_e32 v11, 6, v10
	v_and_b32_e32 v10, 0xffffffc0, v10
	v_sub_u32_e32 v23, v3, v10
	v_lshlrev_b32_e32 v3, 4, v23
	v_sub_u32_e32 v2, v54, v22
	v_lshl_add_u32 v3, v11, 10, v3
	v_mov_b32_e32 v52, v37
	v_add_u32_e32 v12, v3, v22
	v_sub_u32_e32 v37, v2, v3
	v_ashrrev_i32_e32 v3, 31, v2
	v_lshrrev_b32_e32 v3, 22, v3
	v_add_u32_e32 v3, v2, v3
	v_and_b32_e32 v24, 0xfffffc00, v3
	v_sub_u32_e32 v36, v2, v24
	v_ashrrev_i32_e32 v10, 10, v3
	v_cmp_lt_i32_e32 vcc, 15, v36
	v_ashrrev_i32_e32 v13, 31, v12
	v_lshl_add_u64 v[18:19], v[12:13], 0, v[26:27]
	v_addc_co_u32_e64 v2, s[16:17], 0, v10, vcc
	v_sub_u32_e32 v25, v2, v11
	s_mov_b64 s[50:51], 0
	v_cmp_lt_i32_e64 s[16:17], 15, v37
                                        ; implicit-def: $vgpr10_vgpr11
	s_mov_b64 s[48:49], exec
	v_accvgpr_read_b32 v43, a21
	s_and_b64 s[16:17], s[48:49], s[16:17]
	v_accvgpr_read_b32 v42, a20
	s_mov_b64 exec, s[16:17]
	s_cbranch_execz .LBB4_1074
; %bb.1065:                             ;   in Loop: Header=BB4_981 Depth=1
	s_trap 2
	ds_read_b64 v[2:3], v0
	s_mov_b64 s[54:55], 0
                                        ; implicit-def: $sgpr52_sgpr53
                                        ; implicit-def: $vgpr10_vgpr11
	s_waitcnt lgkmcnt(0)
	v_lshl_add_u64 v[20:21], v[2:3], 0, v[12:13]
	s_branch .LBB4_1067
.LBB4_1066:                             ;   in Loop: Header=BB4_1067 Depth=2
	s_or_b64 exec, exec, s[16:17]
	v_cmp_gt_i32_e64 s[16:17], 16, v37
	s_or_b64 s[50:51], s[16:17], s[50:51]
	s_andn2_b64 s[16:17], s[52:53], exec
	s_and_b64 s[52:53], s[54:55], exec
	s_or_b64 s[52:53], s[16:17], s[52:53]
	s_andn2_b64 exec, exec, s[50:51]
	s_cbranch_execz .LBB4_1073
.LBB4_1067:                             ;   Parent Loop BB4_981 Depth=1
                                        ; =>  This Inner Loop Header: Depth=2
	global_load_dwordx4 v[14:17], v[20:21], off nt
	s_and_saveexec_b64 s[16:17], s[54:55]
	s_cbranch_execz .LBB4_1069
; %bb.1068:                             ;   in Loop: Header=BB4_1067 Depth=2
	v_lshl_add_u64 v[2:3], v[18:19], 0, v[56:57]
	global_store_dwordx4 v[18:19], v[10:13], off nt
	v_mov_b64_e32 v[18:19], v[2:3]
.LBB4_1069:                             ;   in Loop: Header=BB4_1067 Depth=2
	s_or_b64 exec, exec, s[16:17]
	v_sub_u32_e32 v37, v37, v0
	v_lshl_add_u64 v[20:21], v[20:21], 0, v[56:57]
	v_cmp_lt_i32_e64 s[54:55], 15, v37
	s_and_saveexec_b64 s[16:17], s[54:55]
	s_cbranch_execz .LBB4_1071
; %bb.1070:                             ;   in Loop: Header=BB4_1067 Depth=2
	global_load_dwordx4 v[10:13], v[20:21], off nt
	v_lshl_add_u64 v[20:21], v[20:21], 0, s[30:31]
.LBB4_1071:                             ;   in Loop: Header=BB4_1067 Depth=2
	s_or_b64 exec, exec, s[16:17]
	v_sub_u32_e32 v25, v25, v48
	s_waitcnt vmcnt(0)
	global_store_dwordx4 v[18:19], v[14:17], off nt
	v_lshl_add_u64 v[18:19], v[18:19], 0, s[30:31]
	s_and_saveexec_b64 s[16:17], s[54:55]
	s_cbranch_execz .LBB4_1066
; %bb.1072:                             ;   in Loop: Header=BB4_1067 Depth=2
	v_lshl_add_u64 v[18:19], v[18:19], 0, v[42:43]
	v_lshl_add_u64 v[20:21], v[20:21], 0, v[42:43]
	v_sub_u32_e32 v37, v37, v0
	v_sub_u32_e32 v25, v25, v48
	s_branch .LBB4_1066
.LBB4_1073:                             ;   in Loop: Header=BB4_981 Depth=1
	s_or_b64 exec, exec, s[50:51]
	s_and_b64 s[50:51], s[52:53], exec
.LBB4_1074:                             ;   in Loop: Header=BB4_981 Depth=1
	s_or_b64 exec, exec, s[48:49]
	s_mov_b64 s[16:17], exec
	s_and_b64 s[48:49], s[16:17], s[50:51]
	v_mov_b32_e32 v37, v52
	s_mov_b64 exec, s[48:49]
	s_cbranch_execz .LBB4_1076
; %bb.1075:                             ;   in Loop: Header=BB4_981 Depth=1
	global_store_dwordx4 v[18:19], v[10:13], off nt
.LBB4_1076:                             ;   in Loop: Header=BB4_981 Depth=1
	s_or_b64 exec, exec, s[16:17]
	v_and_b32_e32 v2, 14, v54
	v_cndmask_b32_e32 v54, v36, v2, vcc
	v_cmp_ne_u32_e64 s[16:17], 0, v54
	s_mov_b64 s[50:51], s[44:45]
                                        ; implicit-def: $vgpr16
                                        ; implicit-def: $vgpr17
                                        ; implicit-def: $vgpr10
	s_and_saveexec_b64 s[48:49], s[16:17]
	s_cbranch_execz .LBB4_1078
; %bb.1077:                             ;   in Loop: Header=BB4_981 Depth=1
	v_sub_u32_e32 v2, v36, v2
	v_cndmask_b32_e32 v2, 0, v2, vcc
	v_cmp_lt_i32_e32 vcc, 0, v25
	v_add3_u32 v16, v24, v22, v2
	s_or_b64 s[50:51], s[44:45], exec
	v_cndmask_b32_e32 v2, 0, v48, vcc
	v_sub_u32_e32 v2, v2, v25
	v_lshl_add_u32 v2, v2, 6, v23
	v_ashrrev_i32_e32 v3, 31, v2
	v_lshrrev_b32_e32 v3, 26, v3
	v_add_u32_e32 v3, v2, v3
	v_ashrrev_i32_e32 v10, 6, v3
	v_and_b32_e32 v3, 0xffffffc0, v3
	v_sub_u32_e32 v17, v2, v3
.LBB4_1078:                             ;   in Loop: Header=BB4_981 Depth=1
	s_or_b64 exec, exec, s[48:49]
	s_andn2_b64 s[16:17], s[44:45], exec
	s_and_b64 vcc, s[50:51], exec
	s_or_b64 s[44:45], s[16:17], vcc
.LBB4_1079:                             ;   in Loop: Header=BB4_981 Depth=1
	s_or_b64 exec, exec, s[46:47]
	v_accvgpr_read_b32 v53, a21
	v_accvgpr_read_b32 v52, a20
	s_and_saveexec_b64 s[16:17], s[44:45]
	s_cbranch_execz .LBB4_1101
.LBB4_1080:                             ;   in Loop: Header=BB4_981 Depth=1
	v_lshlrev_b32_e32 v2, 9, v10
	v_lshlrev_b32_e32 v3, 1, v17
	v_add3_u32 v12, v16, v3, v2
	v_ashrrev_i32_e32 v2, 31, v54
	v_lshrrev_b32_e32 v2, 23, v2
	v_add_u32_e32 v2, v54, v2
	v_ashrrev_i32_e32 v18, 9, v2
	v_sub_u32_e32 v14, v18, v10
	v_ashrrev_i32_e32 v13, 31, v12
	s_waitcnt lgkmcnt(0)
	v_lshl_add_u64 v[10:11], v[26:27], 0, v[12:13]
	v_cmp_lt_i32_e32 vcc, 0, v14
	s_mov_b64 s[46:47], 0
                                        ; implicit-def: $vgpr19
                                        ; implicit-def: $vgpr20
                                        ; implicit-def: $vgpr21
                                        ; implicit-def: $vgpr22
	s_and_saveexec_b64 s[44:45], vcc
	s_cbranch_execz .LBB4_1088
; %bb.1081:                             ;   in Loop: Header=BB4_981 Depth=1
	s_trap 2
	ds_read_b64 v[2:3], v0
	s_mov_b64 s[50:51], 0
                                        ; implicit-def: $sgpr48_sgpr49
                                        ; implicit-def: $vgpr19
                                        ; implicit-def: $vgpr20
                                        ; implicit-def: $vgpr21
                                        ; implicit-def: $vgpr22
	s_waitcnt lgkmcnt(0)
	v_lshl_add_u64 v[12:13], v[2:3], 0, v[12:13]
	s_branch .LBB4_1083
.LBB4_1082:                             ;   in Loop: Header=BB4_1083 Depth=2
	s_or_b64 exec, exec, vcc
	s_waitcnt vmcnt(0) lgkmcnt(0)
	flat_store_short v[10:11], v2 nt
	flat_store_short v[10:11], v3 offset:128 nt
	flat_store_short v[10:11], v23 offset:256 nt
	;; [unrolled: 1-line block ×3, first 2 shown]
	v_lshl_add_u64 v[2:3], v[10:11], 0, v[14:15]
	v_lshl_add_u64 v[12:13], v[12:13], 0, v[14:15]
	v_sub_u32_e32 v14, v25, v36
	v_cmp_gt_i32_e32 vcc, 1, v14
	s_or_b64 s[46:47], vcc, s[46:47]
	s_andn2_b64 vcc, s[48:49], exec
	s_and_b64 s[48:49], s[50:51], exec
	v_lshl_add_u64 v[10:11], v[2:3], 0, s[34:35]
	s_or_b64 s[48:49], vcc, s[48:49]
	s_andn2_b64 exec, exec, s[46:47]
	s_cbranch_execz .LBB4_1087
.LBB4_1083:                             ;   Parent Loop BB4_981 Depth=1
                                        ; =>  This Inner Loop Header: Depth=2
	flat_load_ushort v2, v[12:13] nt
	flat_load_ushort v3, v[12:13] offset:128 nt
	flat_load_ushort v23, v[12:13] offset:256 nt
	flat_load_ushort v24, v[12:13] offset:384 nt
	s_and_saveexec_b64 vcc, s[50:51]
	s_cbranch_execz .LBB4_1085
; %bb.1084:                             ;   in Loop: Header=BB4_1083 Depth=2
	flat_store_short v[10:11], v19 nt
	flat_store_short v[10:11], v20 offset:128 nt
	flat_store_short v[10:11], v21 offset:256 nt
	flat_store_short v[10:11], v22 offset:384 nt
	v_lshl_add_u64 v[10:11], v[10:11], 0, v[60:61]
.LBB4_1085:                             ;   in Loop: Header=BB4_1083 Depth=2
	s_or_b64 exec, exec, vcc
	v_sub_u32_e32 v25, v14, v48
	v_lshl_add_u64 v[12:13], v[12:13], 0, v[60:61]
	v_cmp_lt_i32_e64 s[50:51], 0, v25
	v_mov_b32_e32 v36, 0
	v_mov_b64_e32 v[14:15], 0
	s_and_saveexec_b64 vcc, s[50:51]
	s_cbranch_execz .LBB4_1082
; %bb.1086:                             ;   in Loop: Header=BB4_1083 Depth=2
	flat_load_ushort v19, v[12:13] nt
	flat_load_ushort v20, v[12:13] offset:128 nt
	flat_load_ushort v21, v[12:13] offset:256 nt
	;; [unrolled: 1-line block ×3, first 2 shown]
	v_lshl_add_u64 v[12:13], v[12:13], 0, s[34:35]
	v_mov_b32_e32 v36, v48
	v_mov_b64_e32 v[14:15], v[58:59]
	s_branch .LBB4_1082
.LBB4_1087:                             ;   in Loop: Header=BB4_981 Depth=1
	s_or_b64 exec, exec, s[46:47]
	s_and_b64 s[46:47], s[48:49], exec
.LBB4_1088:                             ;   in Loop: Header=BB4_981 Depth=1
	s_or_b64 exec, exec, s[44:45]
	s_and_saveexec_b64 vcc, s[46:47]
	s_cbranch_execz .LBB4_1090
; %bb.1089:                             ;   in Loop: Header=BB4_981 Depth=1
	flat_store_short v[10:11], v19 nt
	flat_store_short v[10:11], v20 offset:128 nt
	flat_store_short v[10:11], v21 offset:256 nt
	;; [unrolled: 1-line block ×3, first 2 shown]
.LBB4_1090:                             ;   in Loop: Header=BB4_981 Depth=1
	s_or_b64 exec, exec, vcc
	v_lshlrev_b32_e32 v2, 9, v18
	v_cmp_ne_u32_e32 vcc, v54, v2
	s_and_b64 exec, exec, vcc
	s_cbranch_execz .LBB4_1101
; %bb.1091:                             ;   in Loop: Header=BB4_981 Depth=1
	v_lshlrev_b32_e32 v3, 6, v14
	v_sub_u32_e32 v3, v17, v3
	v_ashrrev_i32_e32 v10, 31, v3
	v_lshrrev_b32_e32 v10, 26, v10
	v_add_u32_e32 v10, v3, v10
	v_and_b32_e32 v11, 0x7fffffc0, v10
	v_sub_u32_e32 v3, v3, v11
	v_lshlrev_b32_e32 v10, 1, v10
	v_and_b32_e32 v10, 0xffffff80, v10
	v_lshlrev_b32_e32 v3, 1, v3
	v_add3_u32 v2, v10, v3, v2
	v_add_u32_e32 v12, v2, v16
	v_sub_u32_e32 v14, v54, v2
	v_ashrrev_i32_e32 v13, 31, v12
	v_lshl_add_u64 v[10:11], v[26:27], 0, v[12:13]
	v_cmp_lt_i32_e32 vcc, 1, v14
	s_mov_b64 s[46:47], 0
                                        ; implicit-def: $vgpr16
	s_and_saveexec_b64 s[44:45], vcc
	s_cbranch_execz .LBB4_1099
; %bb.1092:                             ;   in Loop: Header=BB4_981 Depth=1
	s_trap 2
	ds_read_b64 v[2:3], v0
	s_mov_b64 s[50:51], 0
                                        ; implicit-def: $sgpr48_sgpr49
                                        ; implicit-def: $vgpr16
	s_waitcnt lgkmcnt(0)
	v_lshl_add_u64 v[12:13], v[2:3], 0, v[12:13]
	s_branch .LBB4_1094
.LBB4_1093:                             ;   in Loop: Header=BB4_1094 Depth=2
	s_or_b64 exec, exec, vcc
	s_waitcnt vmcnt(0) lgkmcnt(0)
	flat_store_short v[10:11], v2 nt
	v_lshl_add_u64 v[10:11], v[10:11], 0, v[14:15]
	v_lshl_add_u64 v[12:13], v[12:13], 0, v[14:15]
	v_sub_u32_e32 v14, v3, v17
	v_cmp_gt_i32_e32 vcc, 2, v14
	s_or_b64 s[46:47], vcc, s[46:47]
	s_andn2_b64 vcc, s[48:49], exec
	s_and_b64 s[48:49], s[50:51], exec
	v_lshl_add_u64 v[10:11], v[10:11], 0, s[36:37]
	s_or_b64 s[48:49], vcc, s[48:49]
	s_andn2_b64 exec, exec, s[46:47]
	s_cbranch_execz .LBB4_1098
.LBB4_1094:                             ;   Parent Loop BB4_981 Depth=1
                                        ; =>  This Inner Loop Header: Depth=2
	flat_load_ushort v2, v[12:13] nt
	s_and_saveexec_b64 vcc, s[50:51]
	s_cbranch_execz .LBB4_1096
; %bb.1095:                             ;   in Loop: Header=BB4_1094 Depth=2
	v_lshl_add_u64 v[18:19], v[10:11], 0, v[40:41]
	flat_store_short v[10:11], v16 nt
	v_mov_b64_e32 v[10:11], v[18:19]
.LBB4_1096:                             ;   in Loop: Header=BB4_1094 Depth=2
	s_or_b64 exec, exec, vcc
	v_sub_u32_e32 v3, v14, v1
	v_lshl_add_u64 v[12:13], v[12:13], 0, v[40:41]
	v_cmp_lt_i32_e64 s[50:51], 1, v3
	v_mov_b32_e32 v17, 0
	v_mov_b64_e32 v[14:15], 0
	s_and_saveexec_b64 vcc, s[50:51]
	s_cbranch_execz .LBB4_1093
; %bb.1097:                             ;   in Loop: Header=BB4_1094 Depth=2
	flat_load_ushort v16, v[12:13] nt
	v_accvgpr_read_b32 v14, a22
	v_lshl_add_u64 v[12:13], v[12:13], 0, s[36:37]
	v_mov_b32_e32 v17, v1
	v_accvgpr_read_b32 v15, a23
	s_branch .LBB4_1093
.LBB4_1098:                             ;   in Loop: Header=BB4_981 Depth=1
	s_or_b64 exec, exec, s[46:47]
	s_and_b64 s[46:47], s[48:49], exec
.LBB4_1099:                             ;   in Loop: Header=BB4_981 Depth=1
	s_or_b64 exec, exec, s[44:45]
	s_and_b64 exec, exec, s[46:47]
	s_cbranch_execz .LBB4_1101
; %bb.1100:                             ;   in Loop: Header=BB4_981 Depth=1
	flat_store_short v[10:11], v16 nt
.LBB4_1101:                             ;   in Loop: Header=BB4_981 Depth=1
	s_or_b64 exec, exec, s[16:17]
	v_cmp_ne_u32_e64 s[16:17], 0, v31
.LBB4_1102:                             ;   in Loop: Header=BB4_981 Depth=1
	s_and_saveexec_b64 s[44:45], s[4:5]
	s_cbranch_execz .LBB4_1121
; %bb.1103:                             ;   in Loop: Header=BB4_981 Depth=1
	s_and_saveexec_b64 vcc, s[26:27]
	s_xor_b64 s[46:47], exec, vcc
	s_cbranch_execz .LBB4_1118
; %bb.1104:                             ;   in Loop: Header=BB4_981 Depth=1
	s_and_saveexec_b64 s[48:49], s[6:7]
	s_cbranch_execz .LBB4_1117
; %bb.1105:                             ;   in Loop: Header=BB4_981 Depth=1
	s_mov_b64 s[52:53], exec
	v_mbcnt_lo_u32_b32 v2, s52, 0
	v_mbcnt_hi_u32_b32 v2, s53, v2
	v_cmp_eq_u32_e32 vcc, 0, v2
	s_waitcnt lgkmcnt(0)
	s_and_saveexec_b64 s[50:51], vcc
	s_cbranch_execz .LBB4_1107
; %bb.1106:                             ;   in Loop: Header=BB4_981 Depth=1
	s_bcnt1_i32_b64 vcc_lo, s[52:53]
	v_mov_b32_e32 v54, vcc_lo
	ds_add_u64 v0, v[54:55]
	s_trap 2
.LBB4_1107:                             ;   in Loop: Header=BB4_981 Depth=1
	s_or_b64 exec, exec, s[50:51]
	s_trap 2
	ds_read_b64 v[2:3], v0
	v_lshl_add_u64 v[32:33], v[32:33], 0, v[48:49]
	s_waitcnt lgkmcnt(0)
	v_cmp_lt_u64_e32 vcc, v[2:3], v[32:33]
	s_and_saveexec_b64 s[50:51], vcc
	s_cbranch_execz .LBB4_1116
; %bb.1108:                             ;   in Loop: Header=BB4_981 Depth=1
	s_mov_b32 s64, 0
	s_mov_b64 s[52:53], 0
                                        ; implicit-def: $sgpr54_sgpr55
                                        ; implicit-def: $sgpr56_sgpr57
	s_branch .LBB4_1110
.LBB4_1109:                             ;   in Loop: Header=BB4_1110 Depth=2
	s_or_b64 exec, exec, s[60:61]
	s_and_b64 vcc, exec, vcc
	s_or_b64 s[52:53], vcc, s[52:53]
	s_andn2_b64 vcc, s[54:55], exec
	s_and_b64 s[54:55], s[56:57], exec
	s_or_b64 s[54:55], vcc, s[54:55]
	s_andn2_b64 exec, exec, s[52:53]
	s_cbranch_execz .LBB4_1114
.LBB4_1110:                             ;   Parent Loop BB4_981 Depth=1
                                        ; =>  This Inner Loop Header: Depth=2
	s_add_i32 s64, s64, 1
	s_cmpk_lg_i32 s64, 0x2710
	s_cselect_b64 s[58:59], -1, 0
	s_and_b64 vcc, exec, s[58:59]
                                        ; implicit-def: $sgpr60_sgpr61
	s_cbranch_vccnz .LBB4_1112
; %bb.1111:                             ;   in Loop: Header=BB4_1110 Depth=2
	s_trap 2
	ds_read_b64 v[2:3], v0
	s_andn2_b64 s[58:59], s[58:59], exec
	s_mov_b32 s64, 0
	s_mov_b64 s[60:61], -1
	s_waitcnt vmcnt(0) lgkmcnt(0)
	flat_load_dword v2, v[2:3] sc0 sc1
	s_waitcnt vmcnt(0) lgkmcnt(0)
	buffer_inv sc0 sc1
	v_cmp_eq_u32_e32 vcc, 0, v2
	s_and_b64 vcc, vcc, exec
	s_or_b64 s[58:59], s[58:59], vcc
.LBB4_1112:                             ;   in Loop: Header=BB4_1110 Depth=2
	s_andn2_b64 s[56:57], s[56:57], exec
	s_and_b64 s[60:61], s[60:61], exec
	s_mov_b64 vcc, -1
	s_or_b64 s[56:57], s[56:57], s[60:61]
	s_and_saveexec_b64 s[60:61], s[58:59]
	s_cbranch_execz .LBB4_1109
; %bb.1113:                             ;   in Loop: Header=BB4_1110 Depth=2
	s_sleep 1
	s_trap 2
	ds_read_b64 v[2:3], v0
	s_andn2_b64 s[56:57], s[56:57], exec
	s_waitcnt lgkmcnt(0)
	v_cmp_ge_u64_e32 vcc, v[2:3], v[32:33]
	s_orn2_b64 vcc, vcc, exec
	s_branch .LBB4_1109
.LBB4_1114:                             ;   in Loop: Header=BB4_981 Depth=1
	s_or_b64 exec, exec, s[52:53]
	s_and_saveexec_b64 vcc, s[54:55]
	s_xor_b64 vcc, exec, vcc
	s_cbranch_execz .LBB4_1116
; %bb.1115:                             ;   in Loop: Header=BB4_981 Depth=1
	v_mov_b32_e32 v2, 1
	ds_write_b32 v0, v2
	s_trap 2
.LBB4_1116:                             ;   in Loop: Header=BB4_981 Depth=1
	s_or_b64 exec, exec, s[50:51]
	;;#ASMSTART
	s_wakeup
	;;#ASMEND
.LBB4_1117:                             ;   in Loop: Header=BB4_981 Depth=1
	s_or_b64 exec, exec, s[48:49]
.LBB4_1118:                             ;   in Loop: Header=BB4_981 Depth=1
	s_andn2_saveexec_b64 vcc, s[46:47]
	s_cbranch_execz .LBB4_1120
; %bb.1119:                             ;   in Loop: Header=BB4_981 Depth=1
	s_waitcnt lgkmcnt(0)
	s_barrier
.LBB4_1120:                             ;   in Loop: Header=BB4_981 Depth=1
	s_or_b64 exec, exec, vcc
.LBB4_1121:                             ;   in Loop: Header=BB4_981 Depth=1
	s_or_b64 exec, exec, s[44:45]
	v_and_b32_e32 v2, 16, v62
	v_cmp_ne_u32_e32 vcc, 0, v2
	s_and_b64 vcc, vcc, s[16:17]
	s_and_saveexec_b64 s[16:17], vcc
	s_cbranch_execz .LBB4_1123
; %bb.1122:                             ;   in Loop: Header=BB4_981 Depth=1
	buffer_wbl2 sc1
	s_waitcnt vmcnt(0) lgkmcnt(0)
	buffer_inv sc1
.LBB4_1123:                             ;   in Loop: Header=BB4_981 Depth=1
	s_or_b64 exec, exec, s[16:17]
	v_cmp_ne_u32_e32 vcc, 0, v2
	s_and_saveexec_b64 s[16:17], vcc
	s_cbranch_execz .LBB4_1127
; %bb.1124:                             ;   in Loop: Header=BB4_981 Depth=1
	s_and_saveexec_b64 vcc, s[14:15]
	s_cbranch_execz .LBB4_1126
; %bb.1125:                             ;   in Loop: Header=BB4_981 Depth=1
	v_accvgpr_read_b32 v2, a14
	v_accvgpr_read_b32 v3, a15
	v_mov_b32_e32 v10, 1
	flat_store_dword v[2:3], v10 sc0 sc1
.LBB4_1126:                             ;   in Loop: Header=BB4_981 Depth=1
	s_or_b64 exec, exec, vcc
	v_lshl_add_u64 v[8:9], v[8:9], 0, 1
	flat_store_dwordx2 v[34:35], v[8:9] sc0 sc1
.LBB4_1127:                             ;   in Loop: Header=BB4_981 Depth=1
	s_or_b64 exec, exec, s[16:17]
	v_mov_b32_e32 v14, v46
.LBB4_1128:                             ;   in Loop: Header=BB4_981 Depth=1
	s_or_b64 exec, exec, s[42:43]
	s_and_saveexec_b64 s[42:43], s[40:41]
	s_cbranch_execz .LBB4_980
; %bb.1129:                             ;   in Loop: Header=BB4_981 Depth=1
	v_and_b32_e32 v2, 8, v62
	v_cmp_ne_u32_e32 vcc, 0, v2
	s_mov_b64 s[40:41], -1
	v_lshl_add_u64 v[12:13], v[8:9], 0, 1
	s_and_saveexec_b64 s[16:17], vcc
	s_cbranch_execz .LBB4_1141
; %bb.1130:                             ;   in Loop: Header=BB4_981 Depth=1
	v_lshl_add_u64 v[2:3], v[38:39], 0, 8
	v_lshl_add_u64 v[10:11], v[8:9], 0, 1
	v_cmp_lt_u64_e32 vcc, v[2:3], v[10:11]
	v_mov_b32_e32 v2, 1
	s_and_saveexec_b64 s[40:41], vcc
	s_cbranch_execz .LBB4_1140
; %bb.1131:                             ;   in Loop: Header=BB4_981 Depth=1
	s_mov_b64 s[44:45], 0
	v_mov_b32_e32 v2, 0
                                        ; implicit-def: $sgpr46_sgpr47
	s_branch .LBB4_1135
.LBB4_1132:                             ;   in Loop: Header=BB4_1135 Depth=2
	s_or_b64 exec, exec, s[54:55]
	v_mov_b32_e32 v3, 0
	s_orn2_b64 s[52:53], s[52:53], exec
.LBB4_1133:                             ;   in Loop: Header=BB4_1135 Depth=2
	s_or_b64 exec, exec, s[50:51]
	s_andn2_b64 vcc, s[46:47], exec
	s_and_b64 s[46:47], s[52:53], exec
	s_or_b64 s[46:47], vcc, s[46:47]
	v_mov_b32_e32 v2, v3
.LBB4_1134:                             ;   in Loop: Header=BB4_1135 Depth=2
	s_or_b64 exec, exec, s[48:49]
	s_waitcnt vmcnt(0) lgkmcnt(0)
	v_lshl_add_u64 v[16:17], v[38:39], 0, 8
	v_cmp_ge_u64_e32 vcc, v[16:17], v[10:11]
	s_xor_b64 s[48:49], s[46:47], -1
	s_or_b64 vcc, s[48:49], vcc
	s_and_b64 vcc, exec, vcc
	s_or_b64 s[44:45], vcc, s[44:45]
	s_andn2_b64 exec, exec, s[44:45]
	s_cbranch_execz .LBB4_1139
.LBB4_1135:                             ;   Parent Loop BB4_981 Depth=1
                                        ; =>  This Inner Loop Header: Depth=2
	s_sleep 1
	flat_load_dwordx2 v[38:39], v[34:35] sc0 sc1
	v_and_b32_e32 v3, 64, v62
	v_cmp_eq_u32_e32 vcc, 0, v3
	s_andn2_b64 s[46:47], s[46:47], exec
	s_and_saveexec_b64 s[48:49], vcc
	s_cbranch_execz .LBB4_1134
; %bb.1136:                             ;   in Loop: Header=BB4_1135 Depth=2
	v_add_u32_e32 v3, 1, v2
	v_cmp_lt_i32_e32 vcc, s63, v2
	s_mov_b64 s[52:53], -1
	s_and_saveexec_b64 s[50:51], vcc
	s_cbranch_execz .LBB4_1133
; %bb.1137:                             ;   in Loop: Header=BB4_1135 Depth=2
	s_trap 2
	ds_read_b64 v[2:3], v0
	s_waitcnt vmcnt(0) lgkmcnt(0)
	flat_load_dword v2, v[2:3] sc0 sc1
	s_waitcnt vmcnt(0) lgkmcnt(0)
	buffer_inv sc0 sc1
	v_cmp_ne_u32_e32 vcc, 0, v2
	s_and_saveexec_b64 s[54:55], vcc
	s_cbranch_execz .LBB4_1132
; %bb.1138:                             ;   in Loop: Header=BB4_1135 Depth=2
	v_or_b32_e32 v62, 64, v62
	s_xor_b64 s[52:53], exec, -1
	ds_write_b32 v0, v2
	s_trap 2
	s_branch .LBB4_1132
.LBB4_1139:                             ;   in Loop: Header=BB4_981 Depth=1
	s_or_b64 exec, exec, s[44:45]
	v_and_b32_e32 v2, 8, v62
.LBB4_1140:                             ;   in Loop: Header=BB4_981 Depth=1
	s_or_b64 exec, exec, s[40:41]
	v_cmp_eq_u32_e32 vcc, 0, v2
	s_orn2_b64 s[40:41], vcc, exec
	;;#ASMSTART
	s_wakeup
	;;#ASMEND
.LBB4_1141:                             ;   in Loop: Header=BB4_981 Depth=1
	s_or_b64 exec, exec, s[16:17]
	v_sub_u32_e32 v2, v30, v14
	s_xor_b64 s[16:17], s[40:41], -1
	v_min_i32_e32 v10, v46, v2
	s_and_saveexec_b64 s[40:41], s[16:17]
	s_cbranch_execz .LBB4_1151
; %bb.1142:                             ;   in Loop: Header=BB4_981 Depth=1
	v_and_b32_e32 v2, 0x100, v62
	v_cmp_ne_u32_e32 vcc, 0, v2
	v_and_b32_e32 v2, 7, v8
	s_mov_b64 s[16:17], -1
                                        ; implicit-def: $vgpr8_vgpr9
	s_and_saveexec_b64 s[44:45], vcc
	s_cbranch_execz .LBB4_1146
; %bb.1143:                             ;   in Loop: Header=BB4_981 Depth=1
	v_mad_u64_u32 v[14:15], s[16:17], v2, 24, v[6:7]
	flat_load_dword v3, v[14:15]
	v_ashrrev_i32_e32 v11, 31, v10
	v_lshlrev_b64 v[8:9], 1, v[10:11]
	flat_store_dwordx2 v[14:15], v[8:9] offset:8
                                        ; implicit-def: $vgpr8_vgpr9
	s_waitcnt vmcnt(0) lgkmcnt(0)
	v_cmp_ne_u32_e32 vcc, 1, v3
	v_cmp_eq_u32_e64 s[16:17], 1, v3
	s_and_saveexec_b64 s[46:47], s[16:17]
	s_cbranch_execz .LBB4_1145
; %bb.1144:                             ;   in Loop: Header=BB4_981 Depth=1
	flat_load_dword v8, v[14:15] offset:4 sc0 sc1
	s_waitcnt vmcnt(0) lgkmcnt(0)
	v_ashrrev_i32_e32 v9, 31, v8
	v_lshrrev_b64 v[8:9], 1, v[8:9]
.LBB4_1145:                             ;   in Loop: Header=BB4_981 Depth=1
	s_or_b64 exec, exec, s[46:47]
	s_orn2_b64 s[16:17], vcc, exec
.LBB4_1146:                             ;   in Loop: Header=BB4_981 Depth=1
	s_or_b64 exec, exec, s[44:45]
	s_and_saveexec_b64 vcc, s[16:17]
; %bb.1147:                             ;   in Loop: Header=BB4_981 Depth=1
	v_accvgpr_read_b32 v8, a10
	v_mad_i64_i32 v[8:9], s[16:17], v2, v8, 0
; %bb.1148:                             ;   in Loop: Header=BB4_981 Depth=1
	s_or_b64 exec, exec, vcc
	v_accvgpr_read_b32 v2, a12
	v_accvgpr_read_b32 v3, a13
	v_lshl_add_u64 v[2:3], v[8:9], 1, v[2:3]
	ds_write_b64 v0, v[2:3] offset:784
	v_and_b32_e32 v2, 0x2000, v62
	v_cmp_ne_u32_e32 vcc, 0, v2
	s_and_saveexec_b64 s[16:17], vcc
	s_cbranch_execz .LBB4_1150
; %bb.1149:                             ;   in Loop: Header=BB4_981 Depth=1
	ds_read_b64 v[2:3], v0 offset:584
	s_waitcnt lgkmcnt(0)
	v_lshl_add_u64 v[2:3], v[2:3], 0, 1
	ds_write_b64 v0, v[2:3] offset:584
.LBB4_1150:                             ;   in Loop: Header=BB4_981 Depth=1
	s_or_b64 exec, exec, s[16:17]
	v_mov_b64_e32 v[8:9], v[12:13]
.LBB4_1151:                             ;   in Loop: Header=BB4_981 Depth=1
	s_or_b64 exec, exec, s[40:41]
	s_and_saveexec_b64 s[16:17], s[4:5]
	s_cbranch_execz .LBB4_1170
; %bb.1152:                             ;   in Loop: Header=BB4_981 Depth=1
	s_and_saveexec_b64 vcc, s[26:27]
	s_xor_b64 s[40:41], exec, vcc
	s_cbranch_execz .LBB4_1167
; %bb.1153:                             ;   in Loop: Header=BB4_981 Depth=1
	s_and_saveexec_b64 s[44:45], s[6:7]
	s_cbranch_execz .LBB4_1166
; %bb.1154:                             ;   in Loop: Header=BB4_981 Depth=1
	s_mov_b64 s[48:49], exec
	v_mbcnt_lo_u32_b32 v2, s48, 0
	v_mbcnt_hi_u32_b32 v2, s49, v2
	v_cmp_eq_u32_e32 vcc, 0, v2
	s_waitcnt lgkmcnt(0)
	s_and_saveexec_b64 s[46:47], vcc
	s_cbranch_execz .LBB4_1156
; %bb.1155:                             ;   in Loop: Header=BB4_981 Depth=1
	s_bcnt1_i32_b64 vcc_lo, s[48:49]
	v_mov_b32_e32 v54, vcc_lo
	ds_add_u64 v0, v[54:55]
	s_trap 2
.LBB4_1156:                             ;   in Loop: Header=BB4_981 Depth=1
	s_or_b64 exec, exec, s[46:47]
	s_trap 2
	ds_read_b64 v[2:3], v0
	v_lshl_add_u64 v[32:33], v[32:33], 0, v[48:49]
	s_waitcnt lgkmcnt(0)
	v_cmp_lt_u64_e32 vcc, v[2:3], v[32:33]
	s_and_saveexec_b64 s[46:47], vcc
	s_cbranch_execz .LBB4_1165
; %bb.1157:                             ;   in Loop: Header=BB4_981 Depth=1
	s_mov_b32 s58, 0
	s_mov_b64 s[48:49], 0
                                        ; implicit-def: $sgpr50_sgpr51
                                        ; implicit-def: $sgpr52_sgpr53
	s_branch .LBB4_1159
.LBB4_1158:                             ;   in Loop: Header=BB4_1159 Depth=2
	s_or_b64 exec, exec, s[56:57]
	s_and_b64 vcc, exec, vcc
	s_or_b64 s[48:49], vcc, s[48:49]
	s_andn2_b64 vcc, s[50:51], exec
	s_and_b64 s[50:51], s[52:53], exec
	s_or_b64 s[50:51], vcc, s[50:51]
	s_andn2_b64 exec, exec, s[48:49]
	s_cbranch_execz .LBB4_1163
.LBB4_1159:                             ;   Parent Loop BB4_981 Depth=1
                                        ; =>  This Inner Loop Header: Depth=2
	s_add_i32 s58, s58, 1
	s_cmpk_lg_i32 s58, 0x2710
	s_cselect_b64 s[54:55], -1, 0
	s_and_b64 vcc, exec, s[54:55]
                                        ; implicit-def: $sgpr56_sgpr57
	s_cbranch_vccnz .LBB4_1161
; %bb.1160:                             ;   in Loop: Header=BB4_1159 Depth=2
	s_trap 2
	ds_read_b64 v[2:3], v0
	s_andn2_b64 s[54:55], s[54:55], exec
	s_mov_b32 s58, 0
	s_mov_b64 s[56:57], -1
	s_waitcnt vmcnt(0) lgkmcnt(0)
	flat_load_dword v2, v[2:3] sc0 sc1
	s_waitcnt vmcnt(0) lgkmcnt(0)
	buffer_inv sc0 sc1
	v_cmp_eq_u32_e32 vcc, 0, v2
	s_and_b64 vcc, vcc, exec
	s_or_b64 s[54:55], s[54:55], vcc
.LBB4_1161:                             ;   in Loop: Header=BB4_1159 Depth=2
	s_andn2_b64 s[52:53], s[52:53], exec
	s_and_b64 s[56:57], s[56:57], exec
	s_mov_b64 vcc, -1
	s_or_b64 s[52:53], s[52:53], s[56:57]
	s_and_saveexec_b64 s[56:57], s[54:55]
	s_cbranch_execz .LBB4_1158
; %bb.1162:                             ;   in Loop: Header=BB4_1159 Depth=2
	s_sleep 1
	s_trap 2
	ds_read_b64 v[2:3], v0
	s_andn2_b64 s[52:53], s[52:53], exec
	s_waitcnt lgkmcnt(0)
	v_cmp_ge_u64_e32 vcc, v[2:3], v[32:33]
	s_orn2_b64 vcc, vcc, exec
	s_branch .LBB4_1158
.LBB4_1163:                             ;   in Loop: Header=BB4_981 Depth=1
	s_or_b64 exec, exec, s[48:49]
	s_and_saveexec_b64 vcc, s[50:51]
	s_xor_b64 vcc, exec, vcc
	s_cbranch_execz .LBB4_1165
; %bb.1164:                             ;   in Loop: Header=BB4_981 Depth=1
	v_mov_b32_e32 v2, 1
	ds_write_b32 v0, v2
	s_trap 2
.LBB4_1165:                             ;   in Loop: Header=BB4_981 Depth=1
	s_or_b64 exec, exec, s[46:47]
	;;#ASMSTART
	s_wakeup
	;;#ASMEND
.LBB4_1166:                             ;   in Loop: Header=BB4_981 Depth=1
	s_or_b64 exec, exec, s[44:45]
.LBB4_1167:                             ;   in Loop: Header=BB4_981 Depth=1
	s_andn2_saveexec_b64 vcc, s[40:41]
	s_cbranch_execz .LBB4_1169
; %bb.1168:                             ;   in Loop: Header=BB4_981 Depth=1
	s_waitcnt lgkmcnt(0)
	s_barrier
.LBB4_1169:                             ;   in Loop: Header=BB4_981 Depth=1
	s_or_b64 exec, exec, vcc
.LBB4_1170:                             ;   in Loop: Header=BB4_981 Depth=1
	s_or_b64 exec, exec, s[16:17]
	s_trap 2
	ds_read_b32 v3, v0
	v_cmp_lt_i32_e32 vcc, 0, v10
	v_and_b32_e32 v2, 16, v62
	s_waitcnt lgkmcnt(0)
	v_readfirstlane_b32 s16, v3
	s_cmp_eq_u32 s16, 0
	s_cselect_b64 s[16:17], -1, 0
	s_and_b64 s[16:17], vcc, s[16:17]
	v_cmp_ne_u32_e32 vcc, 0, v2
	s_and_b64 vcc, vcc, s[16:17]
	s_and_saveexec_b64 s[16:17], vcc
	s_cbranch_execz .LBB4_1172
; %bb.1171:                             ;   in Loop: Header=BB4_981 Depth=1
	buffer_wbl2 sc1
	s_waitcnt vmcnt(0)
	buffer_inv sc1
.LBB4_1172:                             ;   in Loop: Header=BB4_981 Depth=1
	s_or_b64 exec, exec, s[16:17]
	v_cmp_ne_u32_e32 vcc, 0, v2
	s_and_saveexec_b64 s[16:17], vcc
	s_cbranch_execz .LBB4_979
; %bb.1173:                             ;   in Loop: Header=BB4_981 Depth=1
	s_and_saveexec_b64 vcc, s[14:15]
	s_cbranch_execz .LBB4_978
; %bb.1174:                             ;   in Loop: Header=BB4_981 Depth=1
	v_accvgpr_read_b32 v2, a14
	v_accvgpr_read_b32 v3, a15
	v_mov_b32_e32 v10, 1
	flat_store_dword v[2:3], v10 sc0 sc1
	s_branch .LBB4_978
.LBB4_1175:
	s_or_b64 exec, exec, s[22:23]
	v_accvgpr_read_b32 v25, a9
	v_accvgpr_read_b32 v31, a0
	;; [unrolled: 1-line block ×5, first 2 shown]
.LBB4_1176:
	s_or_b64 exec, exec, s[20:21]
.LBB4_1177:
	s_or_b64 exec, exec, s[18:19]
	v_and_b32_e32 v0, 0x800, v62
	v_cmp_eq_u32_e32 vcc, 0, v0
	s_and_saveexec_b64 s[0:1], vcc
	s_cbranch_execz .LBB4_1212
; %bb.1178:
	v_and_b32_e32 v0, 48, v62
	v_cmp_ne_u32_e32 vcc, 0, v0
	s_and_saveexec_b64 s[2:3], vcc
	s_cbranch_execz .LBB4_1180
; %bb.1179:
	s_waitcnt lgkmcnt(0)
	flat_store_dwordx2 v[24:25], v[8:9] offset:104
.LBB4_1180:
	s_or_b64 exec, exec, s[2:3]
	s_movk_i32 s2, 0x88
	v_and_b32_e32 v0, 0x88, v62
	v_cmp_eq_u32_e32 vcc, s2, v0
	s_and_saveexec_b64 s[2:3], vcc
	s_cbranch_execz .LBB4_1192
; %bb.1181:
	s_waitcnt lgkmcnt(0)
	v_add_u32_e32 v0, -1, v8
	v_and_b32_e32 v0, 7, v0
	v_mad_u64_u32 v[0:1], s[4:5], v0, 24, v[6:7]
	v_lshl_add_u64 v[2:3], v[0:1], 0, 8
	s_mov_b64 s[4:5], 0
	v_mov_b32_e32 v0, 0
	s_movk_i32 s20, 0x270e
                                        ; implicit-def: $sgpr6_sgpr7
	s_branch .LBB4_1186
.LBB4_1182:                             ;   in Loop: Header=BB4_1186 Depth=1
	s_or_b64 exec, exec, s[18:19]
	v_mov_b32_e32 v1, 0
	s_orn2_b64 s[16:17], s[16:17], exec
.LBB4_1183:                             ;   in Loop: Header=BB4_1186 Depth=1
	s_or_b64 exec, exec, s[14:15]
	s_and_b64 s[14:15], s[16:17], exec
	v_mov_b32_e32 v0, v1
.LBB4_1184:                             ;   in Loop: Header=BB4_1186 Depth=1
	s_or_b64 exec, exec, s[12:13]
	s_xor_b64 s[12:13], s[14:15], -1
	s_andn2_b64 s[6:7], s[6:7], exec
	s_and_b64 s[12:13], s[12:13], exec
	s_or_b64 s[6:7], s[6:7], s[12:13]
.LBB4_1185:                             ;   in Loop: Header=BB4_1186 Depth=1
	s_or_b64 exec, exec, s[10:11]
	s_and_b64 s[10:11], exec, s[6:7]
	s_or_b64 s[4:5], s[10:11], s[4:5]
	s_andn2_b64 exec, exec, s[4:5]
	s_cbranch_execz .LBB4_1191
.LBB4_1186:                             ; =>This Inner Loop Header: Depth=1
	flat_load_dwordx2 v[4:5], v[2:3] sc0 sc1
	s_waitcnt vmcnt(0)
	s_or_b64 s[6:7], s[6:7], exec
	s_waitcnt lgkmcnt(0)
	v_cmp_ne_u64_e32 vcc, -1, v[4:5]
	s_and_saveexec_b64 s[10:11], vcc
	s_cbranch_execz .LBB4_1185
; %bb.1187:                             ;   in Loop: Header=BB4_1186 Depth=1
	v_and_b32_e32 v1, 64, v62
	v_cmp_eq_u32_e32 vcc, 0, v1
	s_mov_b64 s[14:15], 0
	s_and_saveexec_b64 s[12:13], vcc
	s_cbranch_execz .LBB4_1184
; %bb.1188:                             ;   in Loop: Header=BB4_1186 Depth=1
	v_add_u32_e32 v1, 1, v0
	v_cmp_lt_i32_e32 vcc, s20, v0
	s_mov_b64 s[16:17], -1
	s_and_saveexec_b64 s[14:15], vcc
	s_cbranch_execz .LBB4_1183
; %bb.1189:                             ;   in Loop: Header=BB4_1186 Depth=1
	s_trap 2
	ds_read_b64 v[0:1], v0
	s_waitcnt lgkmcnt(0)
	flat_load_dword v0, v[0:1] sc0 sc1
	s_waitcnt vmcnt(0) lgkmcnt(0)
	buffer_inv sc0 sc1
	v_cmp_ne_u32_e32 vcc, 0, v0
	s_and_saveexec_b64 s[18:19], vcc
	s_cbranch_execz .LBB4_1182
; %bb.1190:                             ;   in Loop: Header=BB4_1186 Depth=1
	v_or_b32_e32 v62, 64, v62
	s_xor_b64 s[16:17], exec, -1
	ds_write_b32 v0, v0
	s_trap 2
	s_branch .LBB4_1182
.LBB4_1191:
	s_or_b64 exec, exec, s[4:5]
.LBB4_1192:
	s_or_b64 exec, exec, s[2:3]
	v_and_b32_e32 v0, 0x2000, v62
	v_cmp_ne_u32_e32 vcc, 0, v0
	s_and_saveexec_b64 s[2:3], vcc
	s_cbranch_execz .LBB4_1194
; %bb.1193:
	s_trap 2
	ds_read_b64 v[0:1], v0
	v_accvgpr_read_b32 v2, a6
	v_accvgpr_read_b32 v3, a7
	s_waitcnt lgkmcnt(0)
	flat_store_dwordx2 v[2:3], v[0:1] offset:16
.LBB4_1194:
	s_or_b64 exec, exec, s[2:3]
	v_cmp_ne_u32_e32 vcc, 64, v23
	s_and_b64 exec, exec, vcc
	s_cbranch_execz .LBB4_1212
; %bb.1195:
	v_cmp_ne_u32_sdwa s[2:3], v22, v23 src0_sel:WORD_0 src1_sel:DWORD
	s_and_saveexec_b64 s[4:5], s[2:3]
	s_xor_b64 s[2:3], exec, s[4:5]
	s_cbranch_execz .LBB4_1210
; %bb.1196:
	v_and_b32_e32 v0, 63, v31
	v_cmp_eq_u32_e32 vcc, 0, v0
	s_and_saveexec_b64 s[4:5], vcc
	s_cbranch_execz .LBB4_1209
; %bb.1197:
	s_mov_b64 s[10:11], exec
	v_mbcnt_lo_u32_b32 v0, s10, 0
	v_mbcnt_hi_u32_b32 v0, s11, v0
	v_cmp_eq_u32_e32 vcc, 0, v0
	s_waitcnt lgkmcnt(0)
	s_and_saveexec_b64 s[6:7], vcc
	s_cbranch_execz .LBB4_1199
; %bb.1198:
	s_bcnt1_i32_b64 s10, s[10:11]
	v_mov_b32_e32 v0, s10
	v_mov_b32_e32 v1, 0
	ds_add_u64 v0, v[0:1]
	s_trap 2
.LBB4_1199:
	s_or_b64 exec, exec, s[6:7]
	v_ashrrev_i32_e32 v0, 31, v23
	v_lshrrev_b32_e32 v0, 26, v0
	s_trap 2
	ds_read_b64 v[2:3], v0
	v_add_u32_e32 v0, v23, v0
	v_ashrrev_i32_e32 v0, 6, v0
	v_ashrrev_i32_e32 v1, 31, v0
	v_lshl_add_u64 v[0:1], v[32:33], 0, v[0:1]
	s_waitcnt lgkmcnt(0)
	v_cmp_lt_u64_e32 vcc, v[2:3], v[0:1]
	s_and_saveexec_b64 s[6:7], vcc
	s_cbranch_execz .LBB4_1208
; %bb.1200:
	s_mov_b32 s22, 0
	s_mov_b64 s[10:11], 0
                                        ; implicit-def: $sgpr12_sgpr13
                                        ; implicit-def: $sgpr14_sgpr15
	s_branch .LBB4_1202
.LBB4_1201:                             ;   in Loop: Header=BB4_1202 Depth=1
	s_or_b64 exec, exec, s[20:21]
	s_and_b64 s[16:17], exec, s[18:19]
	s_or_b64 s[10:11], s[16:17], s[10:11]
	s_andn2_b64 s[12:13], s[12:13], exec
	s_and_b64 s[16:17], s[14:15], exec
	s_or_b64 s[12:13], s[12:13], s[16:17]
	s_andn2_b64 exec, exec, s[10:11]
	s_cbranch_execz .LBB4_1206
.LBB4_1202:                             ; =>This Inner Loop Header: Depth=1
	s_add_i32 s22, s22, 1
	s_cmpk_lg_i32 s22, 0x2710
	s_cselect_b64 s[16:17], -1, 0
	s_and_b64 vcc, exec, s[16:17]
                                        ; implicit-def: $sgpr20_sgpr21
	s_cbranch_vccnz .LBB4_1204
; %bb.1203:                             ;   in Loop: Header=BB4_1202 Depth=1
	s_trap 2
	ds_read_b64 v[2:3], v0
	s_andn2_b64 s[16:17], s[16:17], exec
	s_mov_b32 s22, 0
	s_mov_b64 s[20:21], -1
	s_waitcnt vmcnt(0) lgkmcnt(0)
	flat_load_dword v2, v[2:3] sc0 sc1
	s_waitcnt vmcnt(0) lgkmcnt(0)
	buffer_inv sc0 sc1
	v_cmp_eq_u32_e32 vcc, 0, v2
	s_and_b64 s[18:19], vcc, exec
	s_or_b64 s[16:17], s[16:17], s[18:19]
.LBB4_1204:                             ;   in Loop: Header=BB4_1202 Depth=1
	s_andn2_b64 s[14:15], s[14:15], exec
	s_and_b64 s[20:21], s[20:21], exec
	s_mov_b64 s[18:19], -1
	s_or_b64 s[14:15], s[14:15], s[20:21]
	s_and_saveexec_b64 s[20:21], s[16:17]
	s_cbranch_execz .LBB4_1201
; %bb.1205:                             ;   in Loop: Header=BB4_1202 Depth=1
	s_sleep 1
	s_trap 2
	ds_read_b64 v[2:3], v0
	s_andn2_b64 s[14:15], s[14:15], exec
	s_waitcnt lgkmcnt(0)
	v_cmp_ge_u64_e32 vcc, v[2:3], v[0:1]
	s_orn2_b64 s[18:19], vcc, exec
	s_branch .LBB4_1201
.LBB4_1206:
	s_or_b64 exec, exec, s[10:11]
	s_and_saveexec_b64 s[10:11], s[12:13]
	s_xor_b64 s[10:11], exec, s[10:11]
	s_cbranch_execz .LBB4_1208
; %bb.1207:
	v_mov_b32_e32 v0, 1
	ds_write_b32 v0, v0
	s_trap 2
.LBB4_1208:
	s_or_b64 exec, exec, s[6:7]
	;;#ASMSTART
	s_wakeup
	;;#ASMEND
.LBB4_1209:
	s_or_b64 exec, exec, s[4:5]
.LBB4_1210:
	s_andn2_saveexec_b64 s[2:3], s[2:3]
	s_cbranch_execz .LBB4_1212
; %bb.1211:
	s_waitcnt lgkmcnt(0)
	s_barrier
.LBB4_1212:
	s_or_b64 exec, exec, s[0:1]
.LBB4_1213:
	s_andn2_saveexec_b64 s[22:23], s[24:25]
	s_cbranch_execz .LBB4_1215
; %bb.1214:
	s_getpc_b64 s[0:1]
	s_add_u32 s0, s0, __PRETTY_FUNCTION__._ZN10PrimitivesI12hip_bfloat168FuncProdIS0_E12FanSymmetricILi1EELi0E11ProtoSimpleILi1ELi1ELi0ELi1ELi0ELi0EELi0ELb0ELi0ELi1ELi0EEC2EiiPKiS9_PKvPvmhhhP15ncclDevWorkCollP14ncclDevWorkP2pii@rel32@lo+4
	s_addc_u32 s1, s1, __PRETTY_FUNCTION__._ZN10PrimitivesI12hip_bfloat168FuncProdIS0_E12FanSymmetricILi1EELi0E11ProtoSimpleILi1ELi1ELi0ELi1ELi0ELi0EELi0ELb0ELi0ELi1ELi0EEC2EiiPKiS9_PKvPvmhhhP15ncclDevWorkCollP14ncclDevWorkP2pii@rel32@hi+12
	v_mov_b32_e32 v0, s0
	s_waitcnt vmcnt(0)
	v_mov_b32_e32 v1, s1
	s_getpc_b64 s[2:3]
	s_add_u32 s2, s2, __assert_fail@rel32@lo+4
	s_addc_u32 s3, s3, __assert_fail@rel32@hi+12
	s_swappc_b64 s[30:31], s[2:3]
	; divergent unreachable
.LBB4_1215:
	s_or_b64 exec, exec, s[22:23]
	scratch_load_dword v62, off, s33        ; 4-byte Folded Reload
	scratch_load_dword v61, off, s33 offset:4 ; 4-byte Folded Reload
	scratch_load_dword v60, off, s33 offset:8 ; 4-byte Folded Reload
	;; [unrolled: 1-line block ×14, first 2 shown]
	v_readlane_b32 s30, v63, 41
	v_readlane_b32 s31, v63, 42
	;; [unrolled: 1-line block ×44, first 2 shown]
	s_or_saveexec_b64 s[2:3], -1
	scratch_load_dword v63, off, s33 offset:128 ; 4-byte Folded Reload
	s_mov_b64 exec, s[2:3]
	s_addk_i32 s32, 0xff70
	s_mov_b32 s33, s0
	s_waitcnt vmcnt(0) lgkmcnt(0)
	s_setpc_b64 s[30:31]
.Lfunc_end4:
	.size	_ZN12_GLOBAL__N_17runRingI12hip_bfloat168FuncProdIS1_E11ProtoSimpleILi1ELi1ELi0ELi1ELi0ELi0EELi0ELi1ELi1EEEviiP15ncclDevWorkColl, .Lfunc_end4-_ZN12_GLOBAL__N_17runRingI12hip_bfloat168FuncProdIS1_E11ProtoSimpleILi1ELi1ELi0ELi1ELi0ELi0EELi0ELi1ELi1EEEviiP15ncclDevWorkColl
                                        ; -- End function
	.section	.AMDGPU.csdata,"",@progbits
; Function info:
; codeLenInByte = 34892
; NumSgprs: 81
; NumVgprs: 64
; NumAgprs: 32
; TotalNumVgprs: 96
; ScratchSize: 208
; MemoryBound: 1
	.text
	.p2align	2                               ; -- Begin function _Z46ncclDevFunc_Reduce_RING_SIMPLE_Prod_bf16_0_1_1v
	.type	_Z46ncclDevFunc_Reduce_RING_SIMPLE_Prod_bf16_0_1_1v,@function
_Z46ncclDevFunc_Reduce_RING_SIMPLE_Prod_bf16_0_1_1v: ; @_Z46ncclDevFunc_Reduce_RING_SIMPLE_Prod_bf16_0_1_1v
; %bb.0:
	s_waitcnt vmcnt(0) expcnt(0) lgkmcnt(0)
	s_mov_b32 s0, s33
	s_mov_b32 s33, s32
	s_or_saveexec_b64 s[2:3], -1
	scratch_store_dword off, v43, s33 offset:16 ; 4-byte Folded Spill
	s_mov_b64 exec, s[2:3]
	v_writelane_b32 v43, s0, 51
	s_add_i32 s32, s32, 32
	scratch_store_dword off, v40, s33 offset:12 ; 4-byte Folded Spill
	scratch_store_dword off, v41, s33 offset:8 ; 4-byte Folded Spill
	;; [unrolled: 1-line block ×3, first 2 shown]
	scratch_store_dword off, v63, s33       ; 4-byte Folded Spill
	v_writelane_b32 v43, s34, 0
	v_writelane_b32 v43, s35, 1
	;; [unrolled: 1-line block ×50, first 2 shown]
	s_nop 1
	v_writelane_b32 v43, s31, 50
	s_trap 2
	ds_read_b32 v0, v0
	v_mov_b32_e32 v40, v31
	s_mov_b32 s75, s12
	s_mov_b64 s[76:77], s[8:9]
	s_waitcnt lgkmcnt(0)
	v_cmp_gt_i32_e32 vcc, 1, v0
	s_cbranch_vccnz .LBB5_8
; %bb.1:
	s_mov_b32 s82, 0
	v_and_b32_e32 v41, 0x3ff, v40
	s_mov_b64 s[78:79], src_shared_base
	v_mov_b32_e32 v42, 6
	s_branch .LBB5_3
.LBB5_2:                                ;   in Loop: Header=BB5_3 Depth=1
	s_or_b64 exec, exec, s[80:81]
	s_trap 2
	ds_read_b32 v0, v0
	s_add_i32 s82, s82, 1
	s_waitcnt lgkmcnt(0)
	v_cmp_lt_i32_e32 vcc, s82, v0
	s_cbranch_vccz .LBB5_8
.LBB5_3:                                ; =>This Inner Loop Header: Depth=1
	s_trap 2
	ds_read_b32 v0, v0
	s_cmp_eq_u32 s82, 0
	s_cbranch_scc1 .LBB5_6
; %bb.4:                                ;   in Loop: Header=BB5_3 Depth=1
	s_trap 2
	s_waitcnt lgkmcnt(0)
	ds_read_b32 v1, v0
	s_waitcnt lgkmcnt(0)
	v_xor_b32_e32 v1, v1, v0
	v_and_b32_e32 v1, 0xff0000, v1
	v_cmp_eq_u32_e32 vcc, 0, v1
	s_cbranch_vccnz .LBB5_6
; %bb.5:                                ;   in Loop: Header=BB5_3 Depth=1
	s_barrier
	ds_read_b32 v0, v0
.LBB5_6:                                ;   in Loop: Header=BB5_3 Depth=1
	s_waitcnt lgkmcnt(0)
	v_lshlrev_b32_sdwa v1, v42, v0 dst_sel:DWORD dst_unused:UNUSED_PAD src0_sel:DWORD src1_sel:BYTE_2
	v_cmp_lt_u32_e32 vcc, v41, v1
	s_and_saveexec_b64 s[80:81], vcc
	s_cbranch_execz .LBB5_2
; %bb.7:                                ;   in Loop: Header=BB5_3 Depth=1
	s_mov_b64 s[8:9], s[76:77]
	s_mov_b32 s12, s75
	v_mov_b32_e32 v31, v40
	v_mov_b32_e32 v0, v41
	;; [unrolled: 1-line block ×3, first 2 shown]
	s_getpc_b64 s[0:1]
	s_add_u32 s0, s0, _ZN12_GLOBAL__N_17runRingI12hip_bfloat168FuncProdIS1_E11ProtoSimpleILi1ELi1ELi0ELi1ELi0ELi0EELi0ELi1ELi1EEEviiP15ncclDevWorkColl@rel32@lo+4
	s_addc_u32 s1, s1, _ZN12_GLOBAL__N_17runRingI12hip_bfloat168FuncProdIS1_E11ProtoSimpleILi1ELi1ELi0ELi1ELi0ELi0EELi0ELi1ELi1EEEviiP15ncclDevWorkColl@rel32@hi+12
	s_swappc_b64 s[30:31], s[0:1]
	s_branch .LBB5_2
.LBB5_8:
	scratch_load_dword v63, off, s33        ; 4-byte Folded Reload
	scratch_load_dword v42, off, s33 offset:4 ; 4-byte Folded Reload
	scratch_load_dword v41, off, s33 offset:8 ; 4-byte Folded Reload
	;; [unrolled: 1-line block ×3, first 2 shown]
	v_readlane_b32 s30, v43, 49
	v_readlane_b32 s31, v43, 50
	;; [unrolled: 1-line block ×52, first 2 shown]
	s_or_saveexec_b64 s[2:3], -1
	scratch_load_dword v43, off, s33 offset:16 ; 4-byte Folded Reload
	s_mov_b64 exec, s[2:3]
	s_addk_i32 s32, 0xffe0
	s_mov_b32 s33, s0
	s_waitcnt vmcnt(0)
	s_setpc_b64 s[30:31]
.Lfunc_end5:
	.size	_Z46ncclDevFunc_Reduce_RING_SIMPLE_Prod_bf16_0_1_1v, .Lfunc_end5-_Z46ncclDevFunc_Reduce_RING_SIMPLE_Prod_bf16_0_1_1v
                                        ; -- End function
	.section	.AMDGPU.csdata,"",@progbits
; Function info:
; codeLenInByte = 1200
; NumSgprs: 89
; NumVgprs: 64
; NumAgprs: 32
; TotalNumVgprs: 96
; ScratchSize: 240
; MemoryBound: 0
	.text
	.p2align	2                               ; -- Begin function _ZN12_GLOBAL__N_17runRingI12hip_bfloat168FuncProdIS1_E11ProtoSimpleILi1ELi1ELi0ELi2ELi0ELi0EELi0ELi2ELi0EEEviiP15ncclDevWorkColl
	.type	_ZN12_GLOBAL__N_17runRingI12hip_bfloat168FuncProdIS1_E11ProtoSimpleILi1ELi1ELi0ELi2ELi0ELi0EELi0ELi2ELi0EEEviiP15ncclDevWorkColl,@function
_ZN12_GLOBAL__N_17runRingI12hip_bfloat168FuncProdIS1_E11ProtoSimpleILi1ELi1ELi0ELi2ELi0ELi0EELi0ELi2ELi0EEEviiP15ncclDevWorkColl: ; @_ZN12_GLOBAL__N_17runRingI12hip_bfloat168FuncProdIS1_E11ProtoSimpleILi1ELi1ELi0ELi2ELi0ELi0EELi0ELi2ELi0EEEviiP15ncclDevWorkColl
; %bb.0:
	s_waitcnt vmcnt(0) expcnt(0) lgkmcnt(0)
	s_mov_b32 s0, s33
	s_mov_b32 s33, s32
	s_or_saveexec_b64 s[2:3], -1
	scratch_store_dword off, v63, s33 offset:12 ; 4-byte Folded Spill
	s_mov_b64 exec, s[2:3]
	v_writelane_b32 v63, s0, 36
	v_accvgpr_write_b32 a20, v40            ;  Reload Reuse
	s_add_i32 s32, s32, 32
	v_accvgpr_write_b32 a21, v41            ;  Reload Reuse
	v_accvgpr_write_b32 a22, v42            ;  Reload Reuse
	;; [unrolled: 1-line block ×11, first 2 shown]
	scratch_store_dword off, v60, s33 offset:8 ; 4-byte Folded Spill
	scratch_store_dword off, v61, s33 offset:4 ; 4-byte Folded Spill
	scratch_store_dword off, v62, s33       ; 4-byte Folded Spill
	v_writelane_b32 v63, s34, 0
	v_writelane_b32 v63, s35, 1
	;; [unrolled: 1-line block ×35, first 2 shown]
	s_nop 1
	v_writelane_b32 v63, s31, 35
	s_trap 2
	ds_read_b64 v[14:15], v0
	ds_read_b32 v6, v0
	v_mov_b32_e32 v25, v1
	v_mov_b32_e32 v45, v0
	flat_load_ushort v17, v[2:3] offset:8
	flat_load_dwordx2 v[8:9], v[2:3]
	s_waitcnt lgkmcnt(0)
	v_ashrrev_i32_e32 v1, 31, v15
	v_mov_b32_e32 v0, v15
	v_lshlrev_b64 v[0:1], 2, v[0:1]
	v_lshl_add_u64 v[0:1], v[14:15], 0, v[0:1]
	v_add_co_u32_e32 v0, vcc, -4, v0
                                        ; implicit-def: $vgpr18_vgpr19
                                        ; implicit-def: $vgpr4_vgpr5
                                        ; implicit-def: $vgpr56_vgpr57
	s_waitcnt vmcnt(0)
	v_mov_b32_e32 v16, v9
	v_addc_co_u32_e32 v1, vcc, -1, v1, vcc
	flat_load_dword v24, v[0:1]
	v_cmp_ne_u32_sdwa s[0:1], v8, v6 src0_sel:BYTE_0 src1_sel:DWORD
	s_and_saveexec_b64 s[2:3], s[0:1]
	s_xor_b64 s[0:1], exec, s[2:3]
	s_cbranch_execz .LBB6_6
; %bb.1:
	v_not_b32_sdwa v9, v8 dst_sel:DWORD dst_unused:UNUSED_PAD src0_sel:BYTE_0
	v_cmp_ne_u32_sdwa s[2:3], v8, v6 src0_sel:BYTE_1 src1_sel:DWORD
                                        ; implicit-def: $vgpr18_vgpr19
                                        ; implicit-def: $vgpr4_vgpr5
                                        ; implicit-def: $vgpr56_vgpr57
	s_and_saveexec_b64 s[4:5], s[2:3]
	s_xor_b64 s[2:3], exec, s[4:5]
	s_cbranch_execz .LBB6_3
; %bb.2:
	flat_load_dwordx4 v[10:13], v[2:3] offset:72
	flat_load_dwordx2 v[0:1], v[2:3] offset:96
	v_add_u32_e32 v4, v6, v9
	v_ashrrev_i32_e32 v5, 31, v4
                                        ; implicit-def: $vgpr8
                                        ; implicit-def: $vgpr9
	s_waitcnt vmcnt(0) lgkmcnt(0)
	v_mul_lo_u32 v5, v12, v5
	v_mad_u64_u32 v[56:57], s[4:5], v12, v4, v[10:11]
	v_mul_lo_u32 v4, v13, v4
	v_lshrrev_b64 v[18:19], 13, v[0:1]
	v_add3_u32 v57, v4, v57, v5
	v_mov_b64_e32 v[4:5], v[12:13]
.LBB6_3:
	s_andn2_saveexec_b64 s[2:3], s[2:3]
	s_cbranch_execz .LBB6_5
; %bb.4:
	flat_load_dwordx4 v[10:13], v[2:3] offset:72
	flat_load_dwordx4 v[4:7], v[2:3] offset:88
	v_add_u32_sdwa v0, v8, v9 dst_sel:DWORD dst_unused:UNUSED_PAD src0_sel:BYTE_1 src1_sel:DWORD
	v_ashrrev_i32_e32 v1, 31, v0
	s_waitcnt vmcnt(0) lgkmcnt(0)
	v_mul_lo_u32 v1, v12, v1
	v_mad_u64_u32 v[56:57], s[4:5], v12, v0, v[10:11]
	v_mul_lo_u32 v0, v13, v0
	v_add3_u32 v57, v0, v57, v1
	v_lshrrev_b32_e32 v18, 2, v7
.LBB6_5:
	s_or_b64 exec, exec, s[2:3]
.LBB6_6:
	s_andn2_saveexec_b64 s[0:1], s[0:1]
	s_cbranch_execz .LBB6_8
; %bb.7:
	flat_load_dwordx2 v[0:1], v[2:3] offset:96
	flat_load_dwordx2 v[4:5], v[2:3] offset:72
	v_mov_b64_e32 v[56:57], 0
	s_waitcnt vmcnt(0) lgkmcnt(0)
	v_lshlrev_b64 v[18:19], 8, v[0:1]
.LBB6_8:
	s_or_b64 exec, exec, s[0:1]
	s_trap 2
	ds_read_b64 v[0:1], v0
	s_waitcnt lgkmcnt(0)
	v_cmp_ne_u32_e32 vcc, -1, v0
	s_nop 1
	v_cndmask_b32_e64 v15, 0, 1, vcc
	v_cmp_ne_u32_e32 vcc, -1, v1
	s_nop 1
	v_addc_co_u32_e64 v6, s[0:1], 0, v15, vcc
	v_lshlrev_b32_e32 v0, 1, v6
	v_cmp_le_i32_e64 s[0:1], v0, v25
	s_and_saveexec_b64 s[2:3], s[0:1]
	s_xor_b64 s[20:21], exec, s[2:3]
	s_cbranch_execz .LBB6_864
; %bb.9:
	flat_load_dwordx4 v[10:13], v[2:3] offset:16
	flat_load_dwordx2 v[20:21], v[2:3] offset:104
	s_trap 2
	s_load_dword s0, s[8:9], 0x0
	v_mov_b32_e32 v0, 0
	v_mov_b32_e32 v62, 4
	s_waitcnt lgkmcnt(0)
	s_cmp_lt_u32 s12, s0
	s_cselect_b32 s0, 12, 18
	s_add_u32 s0, s8, s0
	s_addc_u32 s1, s9, 0
	global_load_ushort v19, v0, s[0:1]
	ds_read_b32 v0, v0
	v_cmp_ge_i32_e64 s[0:1], v45, v15
	s_waitcnt lgkmcnt(0)
	v_readfirstlane_b32 s6, v0
	s_and_saveexec_b64 s[2:3], s[0:1]
	s_cbranch_execz .LBB6_19
; %bb.10:
	v_cmp_le_u32_e64 s[0:1], v6, v45
                                        ; implicit-def: $vgpr62
	s_and_saveexec_b64 s[4:5], s[0:1]
	s_xor_b64 s[0:1], exec, s[4:5]
	s_cbranch_execz .LBB6_16
; %bb.11:
	v_cndmask_b32_e64 v0, 0, 1, vcc
	v_sub_u32_e32 v0, v25, v0
	v_cmp_ge_u32_e32 vcc, v45, v0
                                        ; implicit-def: $sgpr7
	s_and_saveexec_b64 s[4:5], vcc
	s_xor_b64 s[4:5], exec, s[4:5]
; %bb.12:
	s_mov_b32 s7, 16
                                        ; implicit-def: $vgpr6
; %bb.13:
	s_or_saveexec_b64 s[4:5], s[4:5]
	v_mov_b32_e32 v62, s7
	s_xor_b64 exec, exec, s[4:5]
; %bb.14:
	v_sub_u32_e32 v0, v25, v6
	v_cmp_ge_i32_e32 vcc, v45, v0
	s_nop 1
	v_cndmask_b32_e64 v0, 0, 1, vcc
	v_lshlrev_b32_e32 v62, 5, v0
; %bb.15:
	s_or_b64 exec, exec, s[4:5]
.LBB6_16:
	s_andn2_saveexec_b64 s[0:1], s[0:1]
; %bb.17:
	v_mov_b32_e32 v62, 8
; %bb.18:
	s_or_b64 exec, exec, s[0:1]
.LBB6_19:
	s_or_b64 exec, exec, s[2:3]
	v_and_b32_e32 v0, 36, v62
	v_cmp_ne_u32_e32 vcc, 0, v0
	v_mov_b32_e32 v22, -1
	s_and_saveexec_b64 s[0:1], vcc
	s_cbranch_execz .LBB6_21
; %bb.20:
	s_trap 2
	ds_read_b32 v22, v0
.LBB6_21:
	s_or_b64 exec, exec, s[0:1]
	v_and_b32_e32 v0, 24, v62
	v_cmp_ne_u32_e64 s[0:1], 0, v0
	s_and_saveexec_b64 s[2:3], s[0:1]
	s_cbranch_execz .LBB6_23
; %bb.22:
	s_trap 2
	s_waitcnt lgkmcnt(0)
	ds_read_b32 v22, v0
.LBB6_23:
	s_or_b64 exec, exec, s[2:3]
	v_lshrrev_b64 v[0:1], 31, v[16:17]
	v_mov_b64_e32 v[26:27], 0
	v_and_b32_e32 v2, 3, v0
	s_waitcnt lgkmcnt(0)
	v_ashrrev_i32_e32 v23, 31, v22
	v_mov_b64_e32 v[6:7], v[26:27]
                                        ; implicit-def: $agpr4_agpr5
                                        ; implicit-def: $agpr8
                                        ; implicit-def: $vgpr38_vgpr39
                                        ; implicit-def: $agpr10_agpr11
                                        ; implicit-def: $vgpr34_vgpr35
	s_and_saveexec_b64 s[0:1], vcc
	s_cbranch_execz .LBB6_33
; %bb.24:
	s_trap 2
	ds_read_b64 v[0:1], v0
	v_and_b32_e32 v3, 0xffff, v2
	s_movk_i32 s2, 0xa8
                                        ; implicit-def: $agpr4_agpr5
	s_waitcnt lgkmcnt(0)
	v_lshl_add_u64 v[0:1], v[22:23], 3, v[0:1]
	flat_load_dwordx2 v[0:1], v[0:1]
	s_waitcnt vmcnt(0) lgkmcnt(0)
	v_mad_u64_u32 v[0:1], s[2:3], v3, s2, v[0:1]
	flat_load_dword v3, v[0:1] offset:640
	s_mov_b64 s[2:3], 0x1f8
	v_lshl_add_u64 v[26:27], v[0:1], 0, s[2:3]
	s_waitcnt vmcnt(0) lgkmcnt(0)
	v_cmp_eq_u32_e32 vcc, 1, v3
	s_and_saveexec_b64 s[2:3], vcc
	s_cbranch_execz .LBB6_26
; %bb.25:
	flat_load_dwordx2 v[6:7], v[26:27] offset:144
	v_or_b32_e32 v62, 0x2000, v62
	s_waitcnt vmcnt(0) lgkmcnt(0)
	flat_load_dwordx2 v[0:1], v[6:7]
	s_trap 2
	v_accvgpr_write_b32 a4, v6
	v_accvgpr_write_b32 a5, v7
	s_waitcnt vmcnt(0) lgkmcnt(0)
	ds_write_b64 v0, v[0:1]
	flat_load_dwordx2 v[0:1], v[6:7] offset:8
	s_waitcnt vmcnt(0) lgkmcnt(0)
	ds_write_b64 v0, v[0:1]
	flat_load_dwordx2 v[0:1], v[6:7] offset:16
	s_waitcnt vmcnt(0) lgkmcnt(0)
	ds_write_b64 v0, v[0:1]
.LBB6_26:
	s_or_b64 exec, exec, s[2:3]
	flat_load_dwordx2 v[8:9], v[26:27] offset:104
	v_and_b32_e32 v0, 32, v62
	v_cmp_ne_u32_e32 vcc, 0, v0
                                        ; implicit-def: $vgpr34_vgpr35
	s_and_saveexec_b64 s[2:3], vcc
	s_cbranch_execz .LBB6_28
; %bb.27:
	flat_load_dwordx2 v[34:35], v[26:27] offset:56
	s_waitcnt vmcnt(0) lgkmcnt(0)
	flat_store_dwordx2 v[34:35], v[8:9] sc0 sc1
.LBB6_28:
	s_or_b64 exec, exec, s[2:3]
	v_and_b32_e32 v0, 4, v62
	v_cmp_ne_u32_e32 vcc, 0, v0
	v_mov_b64_e32 v[6:7], 0
                                        ; implicit-def: $agpr8
                                        ; implicit-def: $vgpr38_vgpr39
                                        ; implicit-def: $agpr10_agpr11
	s_and_saveexec_b64 s[2:3], vcc
	s_cbranch_execz .LBB6_32
; %bb.29:
	v_and_b32_e32 v0, 0x800, v62
	v_cmp_eq_u32_e32 vcc, 0, v0
	s_and_saveexec_b64 s[4:5], vcc
	s_cbranch_execz .LBB6_31
; %bb.30:
	s_trap 2
	ds_write_b64 v0, v[26:27]
.LBB6_31:
	s_or_b64 exec, exec, s[4:5]
	flat_load_dwordx2 v[34:35], v[26:27] offset:48
	v_or_b32_e32 v1, 0x100, v62
	s_waitcnt vmcnt(0) lgkmcnt(0)
	flat_load_dwordx2 v[38:39], v[34:35] sc0 sc1
	flat_load_dword v0, v[26:27] offset:72
	flat_load_dwordx2 v[6:7], v[26:27] offset:96
	flat_load_dwordx2 a[10:11], v[26:27] offset:16
	s_waitcnt vmcnt(0) lgkmcnt(0)
	v_ashrrev_i32_e32 v0, 1, v0
	v_cmp_eq_u64_e32 vcc, 0, v[6:7]
	v_accvgpr_write_b32 a8, v0
	s_nop 0
	v_cndmask_b32_e32 v62, v1, v62, vcc
.LBB6_32:
	s_or_b64 exec, exec, s[2:3]
.LBB6_33:
	s_or_b64 exec, exec, s[0:1]
	v_and_b32_e32 v0, 24, v62
	v_cmp_ne_u32_e32 vcc, 0, v0
                                        ; implicit-def: $agpr14_agpr15
	s_and_saveexec_b64 s[0:1], vcc
	s_cbranch_execz .LBB6_41
; %bb.34:
	s_trap 2
	ds_read_b64 v[0:1], v0
	v_and_b32_e32 v2, 0xffff, v2
	s_movk_i32 s2, 0xa8
                                        ; implicit-def: $agpr14_agpr15
	s_waitcnt lgkmcnt(0)
	v_lshl_add_u64 v[0:1], v[22:23], 3, v[0:1]
	flat_load_dwordx2 v[0:1], v[0:1]
	s_waitcnt vmcnt(0) lgkmcnt(0)
	v_mad_u64_u32 v[26:27], s[2:3], v2, s2, v[0:1]
	flat_load_dwordx4 v[6:9], v[26:27] offset:96
	v_or_b32_e32 v0, 0x100, v62
	s_waitcnt vmcnt(0) lgkmcnt(0)
	v_cmp_eq_u64_e32 vcc, 0, v[6:7]
	s_nop 1
	v_cndmask_b32_e32 v62, v0, v62, vcc
	v_and_b32_e32 v0, 16, v62
	v_cmp_ne_u32_e32 vcc, 0, v0
	s_and_saveexec_b64 s[2:3], vcc
	s_cbranch_execz .LBB6_36
; %bb.35:
	flat_load_dwordx2 a[14:15], v[26:27] offset:120
	flat_load_dwordx2 v[34:35], v[26:27] offset:48
	;; [unrolled: 1-line block ×3, first 2 shown]
.LBB6_36:
	s_or_b64 exec, exec, s[2:3]
	v_and_b32_e32 v0, 8, v62
	v_cmp_ne_u32_e32 vcc, 0, v0
	s_and_saveexec_b64 s[2:3], vcc
	s_cbranch_execz .LBB6_40
; %bb.37:
	v_and_b32_e32 v0, 0x800, v62
	v_cmp_eq_u32_e32 vcc, 0, v0
	s_and_saveexec_b64 s[4:5], vcc
	s_cbranch_execz .LBB6_39
; %bb.38:
	s_trap 2
	ds_write_b64 v0, v[26:27]
.LBB6_39:
	s_or_b64 exec, exec, s[4:5]
	s_waitcnt vmcnt(0) lgkmcnt(0)
	flat_load_dwordx2 v[34:35], v[26:27] offset:56
	s_waitcnt vmcnt(0) lgkmcnt(0)
	flat_load_dwordx2 v[38:39], v[34:35] sc0 sc1
	flat_load_dword v0, v[26:27] offset:72
	flat_load_dwordx2 a[10:11], v[26:27] offset:16
	s_waitcnt vmcnt(0) lgkmcnt(0)
	v_ashrrev_i32_e32 v0, 1, v0
	v_accvgpr_write_b32 a8, v0
.LBB6_40:
	s_or_b64 exec, exec, s[2:3]
.LBB6_41:
	s_or_b64 exec, exec, s[0:1]
	v_cmp_eq_u32_e64 s[0:1], 0, v45
	s_and_saveexec_b64 s[2:3], s[0:1]
	s_cbranch_execz .LBB6_43
; %bb.42:
	s_waitcnt vmcnt(0)
	v_mov_b32_e32 v0, v12
	v_mov_b32_e32 v1, v13
	;; [unrolled: 1-line block ×4, first 2 shown]
	ds_write2_b64 v0, v[0:1], v[2:3] offset1:1
	v_mov_b32_e32 v0, 0
	v_mov_b32_e32 v1, v0
	s_trap 2
	ds_write_b64 v0, v[0:1]
	ds_write_b64 v0, v[20:21]
.LBB6_43:
	s_or_b64 exec, exec, s[2:3]
	s_ashr_i32 s2, s6, 31
	s_lshr_b32 s2, s2, 29
	s_add_i32 s6, s6, s2
	v_bfe_u32 v2, v16, 1, 30
	v_and_b32_e32 v36, 0x1fffff00, v18
	v_mov_b32_e32 v37, 0
	s_ashr_i32 s60, s6, 4
	s_waitcnt vmcnt(0)
	v_cmp_ne_u32_e32 vcc, v24, v2
                                        ; implicit-def: $vgpr58_vgpr59
	s_and_saveexec_b64 s[2:3], vcc
	s_xor_b64 s[22:23], exec, s[2:3]
	s_cbranch_execz .LBB6_655
; %bb.44:
	v_cmp_ne_u32_e32 vcc, v14, v2
	v_cmp_ne_u64_e64 s[2:3], 0, v[4:5]
                                        ; implicit-def: $vgpr58_vgpr59
	s_and_saveexec_b64 s[4:5], vcc
	s_xor_b64 s[24:25], exec, s[4:5]
	s_cbranch_execz .LBB6_353
; %bb.45:
	v_mov_b64_e32 v[58:59], 0
	s_and_saveexec_b64 s[26:27], s[2:3]
	s_cbranch_execz .LBB6_352
; %bb.46:
	v_accvgpr_read_b32 v0, a8
	v_ashrrev_i32_e32 v1, 31, v0
	v_and_b32_e32 v0, 63, v31
	v_cmp_eq_u32_e64 s[10:11], 0, v0
	v_ashrrev_i32_e32 v0, 31, v45
	v_lshrrev_b32_e32 v0, 26, v0
	v_add_u32_e32 v0, v45, v0
	v_accvgpr_write_b32 a9, v1
	v_and_b32_e32 v1, 0xffffffc0, v0
	v_ashrrev_i32_e32 v55, 6, v0
	v_mov_b32_e32 v30, v31
	v_sub_u32_e32 v31, v45, v1
	v_lshlrev_b32_e32 v0, 11, v55
	v_lshl_add_u32 v0, v31, 4, v0
	v_ashrrev_i32_e32 v1, 31, v0
	v_accvgpr_write_b32 a17, v1
	v_lshrrev_b32_e32 v40, 6, v25
	v_accvgpr_write_b32 a16, v0
	v_mov_b32_e32 v0, 0xfffff800
	v_lshl_add_u32 v0, v40, 11, v0
	v_ashrrev_i32_e32 v1, 31, v0
	s_mov_b64 s[16:17], 0x800
	v_lshlrev_b32_e32 v44, 10, v40
	v_lshl_add_u64 v[46:47], v[0:1], 0, s[16:17]
	v_add_u32_e32 v0, 0xfffffc00, v44
	v_accvgpr_write_b32 a0, v56
	v_ashrrev_i32_e32 v1, 31, v0
	s_mov_b64 s[16:17], 0x400
	v_accvgpr_write_b32 a1, v57
	v_lshl_add_u64 v[56:57], v[0:1], 0, s[16:17]
	v_lshlrev_b32_e32 v0, 7, v40
	v_accvgpr_write_b32 a18, v0
	v_add_u32_e32 v0, 0xffffff80, v0
	v_ashrrev_i32_e32 v1, 31, v0
	s_mov_b64 s[16:17], 0x80
	s_lshr_b32 s4, s60, 27
	v_lshl_add_u64 v[58:59], v[0:1], 0, s[16:17]
	s_waitcnt lgkmcnt(0)
	v_accvgpr_read_b32 v0, a14
	v_mov_b64_e32 v[60:61], 0
	v_accvgpr_write_b32 a2, v26
	s_add_i32 s4, s60, s4
	v_cmp_eq_u32_e32 vcc, 64, v25
	v_mov_b32_e32 v43, 0
	v_accvgpr_read_b32 v1, a15
	v_accvgpr_write_b32 a6, v60
	v_accvgpr_write_b32 a3, v27
	s_ashr_i32 s61, s4, 5
	v_cmp_ge_i32_e64 s[4:5], v45, v25
	v_cmp_ne_u32_e64 s[6:7], 64, v25
	v_mov_b32_e32 v51, v19
	v_cmp_ne_u32_sdwa s[28:29], v19, v25 src0_sel:WORD_0 src1_sel:DWORD
	v_mov_b32_e32 v50, v25
	v_mov_b32_e32 v41, v43
	v_cmp_le_i32_e64 s[12:13], v31, v15
	v_cmp_lt_i32_e64 s[14:15], v31, v15
	s_mov_b64 s[30:31], 0
	v_cmp_eq_u64_e64 s[16:17], 0, v[0:1]
	s_movk_i32 s62, 0x270e
	s_movk_i32 s63, 0x108
	s_xor_b64 s[34:35], vcc, -1
	s_mov_b32 s64, 0x7f800000
	s_movk_i32 s65, 0x7fff
	s_mov_b32 s66, 0xffff0000
	s_mov_b64 s[36:37], 0x380
	v_accvgpr_write_b32 a7, v61
	v_accvgpr_write_b32 a12, v55
	v_accvgpr_write_b32 a13, v44
	s_trap 2
	s_branch .LBB6_49
.LBB6_47:                               ;   in Loop: Header=BB6_49 Depth=1
	s_or_b64 exec, exec, s[18:19]
.LBB6_48:                               ;   in Loop: Header=BB6_49 Depth=1
	s_or_b64 exec, exec, s[40:41]
	v_lshl_add_u64 v[60:61], v[60:61], 0, v[36:37]
	v_cmp_ge_u64_e32 vcc, v[60:61], v[4:5]
	s_or_b64 s[30:31], vcc, s[30:31]
	s_andn2_b64 exec, exec, s[30:31]
	s_cbranch_execz .LBB6_351
.LBB6_49:                               ; =>This Loop Header: Depth=1
                                        ;     Child Loop BB6_58 Depth 2
                                        ;     Child Loop BB6_84 Depth 2
	;; [unrolled: 1-line block ×10, first 2 shown]
	v_sub_co_u32_e32 v0, vcc, v4, v60
	v_mov_b32_e32 v2, 0
	s_nop 0
	v_subb_co_u32_e32 v1, vcc, v5, v61, vcc
	v_cmp_lt_u64_e32 vcc, v[36:37], v[0:1]
	s_nop 1
	v_cndmask_b32_e64 v29, v1, 0, vcc
	v_cndmask_b32_e32 v28, v0, v36, vcc
	v_add_u32_e32 v0, 15, v28
	v_cmp_eq_u64_e32 vcc, 0, v[28:29]
	v_and_b32_e32 v0, 0x3ffffff0, v0
	s_or_b64 s[38:39], s[4:5], vcc
	v_max_i32_e32 v48, s61, v0
	s_xor_b64 s[18:19], s[38:39], -1
	s_and_saveexec_b64 s[40:41], s[18:19]
	s_cbranch_execz .LBB6_301
; %bb.50:                               ;   in Loop: Header=BB6_49 Depth=1
	s_and_saveexec_b64 s[18:19], s[0:1]
	s_cbranch_execz .LBB6_52
; %bb.51:                               ;   in Loop: Header=BB6_49 Depth=1
	s_trap 2
	ds_read_b64 v[0:1], v0
	v_accvgpr_read_b32 v3, a1
	v_accvgpr_read_b32 v2, a0
	v_mov_b32_e32 v42, v43
	s_waitcnt lgkmcnt(0)
	v_lshl_add_u64 v[0:1], v[2:3], 1, v[0:1]
	v_lshl_add_u64 v[0:1], v[60:61], 1, v[0:1]
	ds_write_b64 v0, v[0:1]
	ds_write_b64 v0, v[42:43]
.LBB6_52:                               ;   in Loop: Header=BB6_49 Depth=1
	s_or_b64 exec, exec, s[18:19]
	v_and_b32_e32 v0, 12, v62
	v_cmp_ne_u32_e32 vcc, 0, v0
	s_mov_b64 s[42:43], -1
	v_lshl_add_u64 v[10:11], v[8:9], 0, 1
	s_and_saveexec_b64 s[18:19], vcc
	s_cbranch_execz .LBB6_64
; %bb.53:                               ;   in Loop: Header=BB6_49 Depth=1
	v_and_b32_e32 v42, 8, v62
	v_lshl_add_u64 v[0:1], v[38:39], 0, v[42:43]
	v_lshl_add_u64 v[12:13], v[8:9], 0, 1
	v_cmp_lt_u64_e32 vcc, v[0:1], v[12:13]
	v_mov_b32_e32 v2, 1
	s_and_saveexec_b64 s[42:43], vcc
	s_cbranch_execz .LBB6_63
; %bb.54:                               ;   in Loop: Header=BB6_49 Depth=1
	s_mov_b64 s[44:45], 0
	v_mov_b32_e32 v2, 0
                                        ; implicit-def: $sgpr46_sgpr47
	s_branch .LBB6_58
.LBB6_55:                               ;   in Loop: Header=BB6_58 Depth=2
	s_or_b64 exec, exec, s[54:55]
	v_mov_b32_e32 v3, 0
	s_orn2_b64 s[52:53], s[52:53], exec
.LBB6_56:                               ;   in Loop: Header=BB6_58 Depth=2
	s_or_b64 exec, exec, s[50:51]
	s_andn2_b64 vcc, s[46:47], exec
	s_and_b64 s[46:47], s[52:53], exec
	s_or_b64 s[46:47], vcc, s[46:47]
	v_mov_b32_e32 v2, v3
.LBB6_57:                               ;   in Loop: Header=BB6_58 Depth=2
	s_or_b64 exec, exec, s[48:49]
	s_waitcnt vmcnt(0) lgkmcnt(0)
	v_lshl_add_u64 v[0:1], v[38:39], 0, v[42:43]
	v_cmp_ge_u64_e32 vcc, v[0:1], v[12:13]
	s_xor_b64 s[48:49], s[46:47], -1
	s_or_b64 vcc, s[48:49], vcc
	s_and_b64 vcc, exec, vcc
	s_or_b64 s[44:45], vcc, s[44:45]
	s_andn2_b64 exec, exec, s[44:45]
	s_cbranch_execz .LBB6_62
.LBB6_58:                               ;   Parent Loop BB6_49 Depth=1
                                        ; =>  This Inner Loop Header: Depth=2
	s_sleep 1
	flat_load_dwordx2 v[38:39], v[34:35] sc0 sc1
	v_and_b32_e32 v0, 64, v62
	v_cmp_eq_u32_e32 vcc, 0, v0
	s_andn2_b64 s[46:47], s[46:47], exec
	s_and_saveexec_b64 s[48:49], vcc
	s_cbranch_execz .LBB6_57
; %bb.59:                               ;   in Loop: Header=BB6_58 Depth=2
	v_add_u32_e32 v3, 1, v2
	v_cmp_lt_i32_e32 vcc, s62, v2
	s_mov_b64 s[52:53], -1
	s_and_saveexec_b64 s[50:51], vcc
	s_cbranch_execz .LBB6_56
; %bb.60:                               ;   in Loop: Header=BB6_58 Depth=2
	s_trap 2
	ds_read_b64 v[0:1], v0
	s_waitcnt vmcnt(0) lgkmcnt(0)
	flat_load_dword v2, v[0:1] sc0 sc1
	s_waitcnt vmcnt(0) lgkmcnt(0)
	buffer_inv sc0 sc1
	v_cmp_ne_u32_e32 vcc, 0, v2
	s_and_saveexec_b64 s[54:55], vcc
	s_cbranch_execz .LBB6_55
; %bb.61:                               ;   in Loop: Header=BB6_58 Depth=2
	v_or_b32_e32 v62, 64, v62
	s_xor_b64 s[52:53], exec, -1
	ds_write_b32 v0, v2
	s_trap 2
	s_branch .LBB6_55
.LBB6_62:                               ;   in Loop: Header=BB6_49 Depth=1
	s_or_b64 exec, exec, s[44:45]
	v_and_b32_e32 v2, 12, v62
.LBB6_63:                               ;   in Loop: Header=BB6_49 Depth=1
	s_or_b64 exec, exec, s[42:43]
	v_cmp_eq_u32_e32 vcc, 0, v2
	s_orn2_b64 s[42:43], vcc, exec
	;;#ASMSTART
	s_wakeup
	;;#ASMEND
.LBB6_64:                               ;   in Loop: Header=BB6_49 Depth=1
	s_or_b64 exec, exec, s[18:19]
	s_xor_b64 s[18:19], s[42:43], -1
	v_min_u32_e32 v48, v48, v28
	s_and_saveexec_b64 s[42:43], s[18:19]
	s_cbranch_execz .LBB6_76
; %bb.65:                               ;   in Loop: Header=BB6_49 Depth=1
	v_and_b32_e32 v0, 0x108, v62
	v_cmp_ne_u32_e32 vcc, s63, v0
	v_and_b32_e32 v8, 7, v8
	s_and_saveexec_b64 s[18:19], vcc
	s_xor_b64 s[18:19], exec, s[18:19]
	s_andn2_saveexec_b64 s[18:19], s[18:19]
	s_cbranch_execz .LBB6_67
; %bb.66:                               ;   in Loop: Header=BB6_49 Depth=1
	v_mad_u64_u32 v[0:1], vcc, v8, 24, v[6:7]
	v_lshlrev_b32_e32 v2, 1, v48
	v_mov_b32_e32 v3, v43
	flat_store_dwordx2 v[0:1], v[2:3] offset:8
.LBB6_67:                               ;   in Loop: Header=BB6_49 Depth=1
	s_or_b64 exec, exec, s[18:19]
	v_and_b32_e32 v0, 0x100, v62
	v_cmp_ne_u32_e32 vcc, 0, v0
	s_mov_b64 s[18:19], -1
                                        ; implicit-def: $vgpr12_vgpr13
	s_and_saveexec_b64 s[44:45], vcc
	s_cbranch_execz .LBB6_71
; %bb.68:                               ;   in Loop: Header=BB6_49 Depth=1
	v_mad_u64_u32 v[2:3], s[18:19], v8, 24, v[6:7]
	v_mov_b32_e32 v0, v3
	v_mad_u64_u32 v[0:1], s[18:19], v43, 24, v[0:1]
	v_mov_b32_e32 v3, v0
	flat_load_dword v0, v[2:3]
                                        ; implicit-def: $vgpr12_vgpr13
	s_waitcnt vmcnt(0) lgkmcnt(0)
	v_cmp_ne_u32_e32 vcc, 1, v0
	v_cmp_eq_u32_e64 s[18:19], 1, v0
	s_and_saveexec_b64 s[46:47], s[18:19]
	s_cbranch_execz .LBB6_70
; %bb.69:                               ;   in Loop: Header=BB6_49 Depth=1
	flat_load_dword v0, v[2:3] offset:4 sc0 sc1
	s_waitcnt vmcnt(0) lgkmcnt(0)
	v_ashrrev_i32_e32 v1, 31, v0
	v_lshrrev_b64 v[12:13], 1, v[0:1]
.LBB6_70:                               ;   in Loop: Header=BB6_49 Depth=1
	s_or_b64 exec, exec, s[46:47]
	s_orn2_b64 s[18:19], vcc, exec
.LBB6_71:                               ;   in Loop: Header=BB6_49 Depth=1
	s_or_b64 exec, exec, s[44:45]
	s_and_saveexec_b64 vcc, s[18:19]
; %bb.72:                               ;   in Loop: Header=BB6_49 Depth=1
	v_accvgpr_read_b32 v2, a8
	v_accvgpr_read_b32 v1, a9
	v_mul_lo_u32 v0, v43, v2
	v_mul_lo_u32 v1, v8, v1
	v_mad_u64_u32 v[12:13], s[18:19], v8, v2, 0
	v_add3_u32 v13, v13, v1, v0
; %bb.73:                               ;   in Loop: Header=BB6_49 Depth=1
	s_or_b64 exec, exec, vcc
	v_accvgpr_read_b32 v0, a10
	v_accvgpr_read_b32 v1, a11
	v_lshl_add_u64 v[0:1], v[12:13], 1, v[0:1]
	s_trap 2
	ds_write_b64 v0, v[0:1]
	v_and_b32_e32 v0, 0x2000, v62
	v_cmp_ne_u32_e32 vcc, 0, v0
	s_and_saveexec_b64 s[18:19], vcc
	s_cbranch_execz .LBB6_75
; %bb.74:                               ;   in Loop: Header=BB6_49 Depth=1
	ds_read_b64 v[0:1], v0 offset:584
	s_waitcnt lgkmcnt(0)
	v_lshl_add_u64 v[0:1], v[0:1], 0, 1
	ds_write_b64 v0, v[0:1] offset:584
.LBB6_75:                               ;   in Loop: Header=BB6_49 Depth=1
	s_or_b64 exec, exec, s[18:19]
	v_mov_b64_e32 v[8:9], v[10:11]
.LBB6_76:                               ;   in Loop: Header=BB6_49 Depth=1
	s_or_b64 exec, exec, s[42:43]
	s_and_saveexec_b64 s[18:19], s[6:7]
	s_cbranch_execz .LBB6_95
; %bb.77:                               ;   in Loop: Header=BB6_49 Depth=1
	s_and_saveexec_b64 vcc, s[28:29]
	s_xor_b64 s[42:43], exec, vcc
	s_cbranch_execz .LBB6_92
; %bb.78:                               ;   in Loop: Header=BB6_49 Depth=1
	s_and_saveexec_b64 s[44:45], s[10:11]
	s_cbranch_execz .LBB6_91
; %bb.79:                               ;   in Loop: Header=BB6_49 Depth=1
	s_mov_b64 s[48:49], exec
	v_mbcnt_lo_u32_b32 v0, s48, 0
	v_mbcnt_hi_u32_b32 v0, s49, v0
	v_cmp_eq_u32_e32 vcc, 0, v0
	s_waitcnt lgkmcnt(0)
	s_and_saveexec_b64 s[46:47], vcc
	s_cbranch_execz .LBB6_81
; %bb.80:                               ;   in Loop: Header=BB6_49 Depth=1
	s_bcnt1_i32_b64 vcc_lo, s[48:49]
	v_mov_b32_e32 v42, vcc_lo
	ds_add_u64 v0, v[42:43]
	s_trap 2
.LBB6_81:                               ;   in Loop: Header=BB6_49 Depth=1
	s_or_b64 exec, exec, s[46:47]
	s_trap 2
	ds_read_b64 v[0:1], v0
	v_accvgpr_read_b32 v2, a6
	v_accvgpr_read_b32 v3, a7
	v_lshl_add_u64 v[2:3], v[2:3], 0, v[40:41]
	v_accvgpr_write_b32 a7, v3
	v_accvgpr_write_b32 a6, v2
	s_waitcnt lgkmcnt(0)
	v_cmp_lt_u64_e32 vcc, v[0:1], v[2:3]
	s_and_saveexec_b64 s[46:47], vcc
	s_cbranch_execz .LBB6_90
; %bb.82:                               ;   in Loop: Header=BB6_49 Depth=1
	s_mov_b32 s58, 0
	s_mov_b64 s[48:49], 0
                                        ; implicit-def: $sgpr50_sgpr51
                                        ; implicit-def: $sgpr52_sgpr53
	s_branch .LBB6_84
.LBB6_83:                               ;   in Loop: Header=BB6_84 Depth=2
	s_or_b64 exec, exec, s[56:57]
	s_and_b64 vcc, exec, vcc
	s_or_b64 s[48:49], vcc, s[48:49]
	s_andn2_b64 vcc, s[50:51], exec
	s_and_b64 s[50:51], s[52:53], exec
	s_or_b64 s[50:51], vcc, s[50:51]
	s_andn2_b64 exec, exec, s[48:49]
	s_cbranch_execz .LBB6_88
.LBB6_84:                               ;   Parent Loop BB6_49 Depth=1
                                        ; =>  This Inner Loop Header: Depth=2
	s_add_i32 s58, s58, 1
	s_cmpk_lg_i32 s58, 0x2710
	s_cselect_b64 s[54:55], -1, 0
	s_and_b64 vcc, exec, s[54:55]
                                        ; implicit-def: $sgpr56_sgpr57
	s_cbranch_vccnz .LBB6_86
; %bb.85:                               ;   in Loop: Header=BB6_84 Depth=2
	s_trap 2
	ds_read_b64 v[0:1], v0
	s_andn2_b64 s[54:55], s[54:55], exec
	s_mov_b32 s58, 0
	s_mov_b64 s[56:57], -1
	s_waitcnt vmcnt(0) lgkmcnt(0)
	flat_load_dword v0, v[0:1] sc0 sc1
	s_waitcnt vmcnt(0) lgkmcnt(0)
	buffer_inv sc0 sc1
	v_cmp_eq_u32_e32 vcc, 0, v0
	s_and_b64 vcc, vcc, exec
	s_or_b64 s[54:55], s[54:55], vcc
.LBB6_86:                               ;   in Loop: Header=BB6_84 Depth=2
	s_andn2_b64 s[52:53], s[52:53], exec
	s_and_b64 s[56:57], s[56:57], exec
	s_mov_b64 vcc, -1
	s_or_b64 s[52:53], s[52:53], s[56:57]
	s_and_saveexec_b64 s[56:57], s[54:55]
	s_cbranch_execz .LBB6_83
; %bb.87:                               ;   in Loop: Header=BB6_84 Depth=2
	s_sleep 1
	s_trap 2
	ds_read_b64 v[0:1], v0
	v_accvgpr_read_b32 v2, a6
	v_accvgpr_read_b32 v3, a7
	s_andn2_b64 s[52:53], s[52:53], exec
	s_waitcnt lgkmcnt(0)
	v_cmp_ge_u64_e32 vcc, v[0:1], v[2:3]
	s_orn2_b64 vcc, vcc, exec
	s_branch .LBB6_83
.LBB6_88:                               ;   in Loop: Header=BB6_49 Depth=1
	s_or_b64 exec, exec, s[48:49]
	s_and_saveexec_b64 vcc, s[50:51]
	s_xor_b64 vcc, exec, vcc
	s_cbranch_execz .LBB6_90
; %bb.89:                               ;   in Loop: Header=BB6_49 Depth=1
	v_mov_b32_e32 v0, 1
	ds_write_b32 v0, v0
	s_trap 2
.LBB6_90:                               ;   in Loop: Header=BB6_49 Depth=1
	s_or_b64 exec, exec, s[46:47]
	;;#ASMSTART
	s_wakeup
	;;#ASMEND
.LBB6_91:                               ;   in Loop: Header=BB6_49 Depth=1
	s_or_b64 exec, exec, s[44:45]
.LBB6_92:                               ;   in Loop: Header=BB6_49 Depth=1
	s_andn2_saveexec_b64 vcc, s[42:43]
	s_cbranch_execz .LBB6_94
; %bb.93:                               ;   in Loop: Header=BB6_49 Depth=1
	s_waitcnt lgkmcnt(0)
	s_barrier
.LBB6_94:                               ;   in Loop: Header=BB6_49 Depth=1
	s_or_b64 exec, exec, vcc
.LBB6_95:                               ;   in Loop: Header=BB6_49 Depth=1
	s_or_b64 exec, exec, s[18:19]
	s_trap 2
	ds_read_b32 v2, v0
	v_and_b32_e32 v0, 0x4000, v62
	v_cmp_ne_u32_e32 vcc, 0, v0
	s_and_b64 vcc, s[34:35], vcc
	s_and_saveexec_b64 s[18:19], vcc
	s_cbranch_execz .LBB6_114
; %bb.96:                               ;   in Loop: Header=BB6_49 Depth=1
	s_and_saveexec_b64 vcc, s[28:29]
	s_xor_b64 s[42:43], exec, vcc
	s_cbranch_execz .LBB6_111
; %bb.97:                               ;   in Loop: Header=BB6_49 Depth=1
	s_and_saveexec_b64 s[44:45], s[10:11]
	s_cbranch_execz .LBB6_110
; %bb.98:                               ;   in Loop: Header=BB6_49 Depth=1
	s_mov_b64 s[48:49], exec
	v_mbcnt_lo_u32_b32 v0, s48, 0
	v_mbcnt_hi_u32_b32 v0, s49, v0
	v_cmp_eq_u32_e32 vcc, 0, v0
	s_waitcnt lgkmcnt(0)
	s_and_saveexec_b64 s[46:47], vcc
	s_cbranch_execz .LBB6_100
; %bb.99:                               ;   in Loop: Header=BB6_49 Depth=1
	s_bcnt1_i32_b64 vcc_lo, s[48:49]
	v_mov_b32_e32 v42, vcc_lo
	ds_add_u64 v0, v[42:43]
	s_trap 2
.LBB6_100:                              ;   in Loop: Header=BB6_49 Depth=1
	s_or_b64 exec, exec, s[46:47]
	s_trap 2
	ds_read_b64 v[0:1], v0
	v_accvgpr_read_b32 v11, a7
	v_accvgpr_read_b32 v10, a6
	v_lshl_add_u64 v[10:11], v[10:11], 0, v[40:41]
	v_accvgpr_write_b32 a6, v10
	v_accvgpr_write_b32 a7, v11
	s_waitcnt lgkmcnt(0)
	v_cmp_lt_u64_e32 vcc, v[0:1], v[10:11]
	s_and_saveexec_b64 s[46:47], vcc
	s_cbranch_execz .LBB6_109
; %bb.101:                              ;   in Loop: Header=BB6_49 Depth=1
	s_mov_b32 s58, 0
	s_mov_b64 s[48:49], 0
                                        ; implicit-def: $sgpr50_sgpr51
                                        ; implicit-def: $sgpr52_sgpr53
	s_branch .LBB6_103
.LBB6_102:                              ;   in Loop: Header=BB6_103 Depth=2
	s_or_b64 exec, exec, s[56:57]
	s_and_b64 vcc, exec, vcc
	s_or_b64 s[48:49], vcc, s[48:49]
	s_andn2_b64 vcc, s[50:51], exec
	s_and_b64 s[50:51], s[52:53], exec
	s_or_b64 s[50:51], vcc, s[50:51]
	s_andn2_b64 exec, exec, s[48:49]
	s_cbranch_execz .LBB6_107
.LBB6_103:                              ;   Parent Loop BB6_49 Depth=1
                                        ; =>  This Inner Loop Header: Depth=2
	s_add_i32 s58, s58, 1
	s_cmpk_lg_i32 s58, 0x2710
	s_cselect_b64 s[54:55], -1, 0
	s_and_b64 vcc, exec, s[54:55]
                                        ; implicit-def: $sgpr56_sgpr57
	s_cbranch_vccnz .LBB6_105
; %bb.104:                              ;   in Loop: Header=BB6_103 Depth=2
	s_trap 2
	ds_read_b64 v[0:1], v0
	s_andn2_b64 s[54:55], s[54:55], exec
	s_mov_b32 s58, 0
	s_mov_b64 s[56:57], -1
	s_waitcnt vmcnt(0) lgkmcnt(0)
	flat_load_dword v0, v[0:1] sc0 sc1
	s_waitcnt vmcnt(0) lgkmcnt(0)
	buffer_inv sc0 sc1
	v_cmp_eq_u32_e32 vcc, 0, v0
	s_and_b64 vcc, vcc, exec
	s_or_b64 s[54:55], s[54:55], vcc
.LBB6_105:                              ;   in Loop: Header=BB6_103 Depth=2
	s_andn2_b64 s[52:53], s[52:53], exec
	s_and_b64 s[56:57], s[56:57], exec
	s_mov_b64 vcc, -1
	s_or_b64 s[52:53], s[52:53], s[56:57]
	s_and_saveexec_b64 s[56:57], s[54:55]
	s_cbranch_execz .LBB6_102
; %bb.106:                              ;   in Loop: Header=BB6_103 Depth=2
	s_sleep 1
	s_trap 2
	ds_read_b64 v[0:1], v0
	v_accvgpr_read_b32 v11, a7
	v_accvgpr_read_b32 v10, a6
	s_andn2_b64 s[52:53], s[52:53], exec
	s_waitcnt lgkmcnt(0)
	v_cmp_ge_u64_e32 vcc, v[0:1], v[10:11]
	s_orn2_b64 vcc, vcc, exec
	s_branch .LBB6_102
.LBB6_107:                              ;   in Loop: Header=BB6_49 Depth=1
	s_or_b64 exec, exec, s[48:49]
	s_and_saveexec_b64 vcc, s[50:51]
	s_xor_b64 vcc, exec, vcc
	s_cbranch_execz .LBB6_109
; %bb.108:                              ;   in Loop: Header=BB6_49 Depth=1
	v_mov_b32_e32 v0, 1
	ds_write_b32 v0, v0
	s_trap 2
.LBB6_109:                              ;   in Loop: Header=BB6_49 Depth=1
	s_or_b64 exec, exec, s[46:47]
	;;#ASMSTART
	s_wakeup
	;;#ASMEND
.LBB6_110:                              ;   in Loop: Header=BB6_49 Depth=1
	s_or_b64 exec, exec, s[44:45]
.LBB6_111:                              ;   in Loop: Header=BB6_49 Depth=1
	s_andn2_saveexec_b64 vcc, s[42:43]
	s_cbranch_execz .LBB6_113
; %bb.112:                              ;   in Loop: Header=BB6_49 Depth=1
	s_waitcnt lgkmcnt(0)
	s_barrier
.LBB6_113:                              ;   in Loop: Header=BB6_49 Depth=1
	s_or_b64 exec, exec, vcc
.LBB6_114:                              ;   in Loop: Header=BB6_49 Depth=1
	s_or_b64 exec, exec, s[18:19]
	s_trap 2
	ds_read_b64 v[0:1], v0
	s_waitcnt lgkmcnt(0)
	v_readfirstlane_b32 s18, v0
	v_readfirstlane_b32 s19, v1
	s_cmp_eq_u64 s[18:19], 0
	s_cselect_b64 s[18:19], -1, 0
	s_or_b64 vcc, s[18:19], s[18:19]
	s_mov_b64 s[18:19], 0
	s_and_b64 vcc, exec, vcc
	s_cbranch_vccnz .LBB6_275
; %bb.115:                              ;   in Loop: Header=BB6_49 Depth=1
	s_mov_b64 s[18:19], -1
	s_and_saveexec_b64 s[42:43], s[12:13]
	s_cbranch_execz .LBB6_117
; %bb.116:                              ;   in Loop: Header=BB6_49 Depth=1
	ds_read_b32 v0, v0 offset:720
	s_waitcnt lgkmcnt(0)
	v_and_b32_e32 v0, 15, v0
	v_cmp_eq_u32_e32 vcc, 0, v0
	s_orn2_b64 s[18:19], vcc, exec
.LBB6_117:                              ;   in Loop: Header=BB6_49 Depth=1
	s_or_b64 exec, exec, s[42:43]
	s_and_saveexec_b64 s[42:43], s[14:15]
	s_cbranch_execz .LBB6_119
; %bb.118:                              ;   in Loop: Header=BB6_49 Depth=1
	ds_read_b32 v0, v0 offset:784
	s_waitcnt lgkmcnt(0)
	v_and_b32_e32 v0, 15, v0
	v_cmp_eq_u32_e32 vcc, 0, v0
	s_and_b64 vcc, s[18:19], vcc
	s_andn2_b64 s[18:19], s[18:19], exec
	s_and_b64 vcc, vcc, exec
	s_or_b64 s[18:19], s[18:19], vcc
.LBB6_119:                              ;   in Loop: Header=BB6_49 Depth=1
	s_or_b64 exec, exec, s[42:43]
	v_cmp_eq_u32_e32 vcc, 0, v2
	s_xor_b64 s[18:19], s[18:19], -1
	v_cndmask_b32_e64 v0, 0, 1, s[18:19]
	v_cndmask_b32_e32 v29, 0, v48, vcc
	v_mov_b32_e32 v16, 0
	v_lshlrev_b32_e32 v49, 1, v29
	s_mov_b64 s[44:45], -1
	;;#ASMSTART
	;;#ASMEND
	s_nop 0
	v_cmp_ne_u32_e32 vcc, 0, v0
	s_cbranch_vccz .LBB6_121
; %bb.120:                              ;   in Loop: Header=BB6_49 Depth=1
	v_mov_b32_e32 v17, v45
	v_mov_b32_e32 v2, v55
	s_and_saveexec_b64 s[18:19], s[44:45]
	s_cbranch_execnz .LBB6_230
	s_branch .LBB6_274
.LBB6_121:                              ;   in Loop: Header=BB6_49 Depth=1
	v_lshrrev_b32_e32 v0, 10, v29
	v_sub_u32_e32 v42, v0, v55
	v_cmp_lt_i32_e32 vcc, 0, v42
	s_and_saveexec_b64 s[18:19], vcc
	s_cbranch_execz .LBB6_189
; %bb.122:                              ;   in Loop: Header=BB6_49 Depth=1
	v_accvgpr_write_b32 a19, v0
	s_trap 2
	ds_read_b128 v[0:3], v0
	v_accvgpr_read_b32 v12, a16
	v_accvgpr_read_b32 v13, a17
	v_mov_b32_e32 v27, v45
	s_mov_b64 s[42:43], 0
	s_waitcnt lgkmcnt(0)
	ds_read_b64 v[10:11], v0
	v_lshl_add_u64 v[44:45], v[0:1], 0, v[12:13]
	v_lshl_add_u64 v[54:55], v[2:3], 0, v[12:13]
	s_waitcnt lgkmcnt(0)
	v_lshl_add_u64 v[32:33], v[10:11], 0, v[12:13]
	s_branch .LBB6_124
.LBB6_123:                              ;   in Loop: Header=BB6_124 Depth=2
	s_or_b64 exec, exec, s[44:45]
	v_lshrrev_b32_e32 v11, 16, v21
	v_lshrrev_b32_e32 v0, 16, v53
	;; [unrolled: 1-line block ×3, first 2 shown]
	v_and_or_b32 v21, v15, s66, v11
	v_lshrrev_b32_e32 v11, 16, v19
	v_and_or_b32 v1, v23, s66, v0
	v_lshrrev_b32_e32 v0, 16, v52
	;; [unrolled: 2-line block ×4, first 2 shown]
	v_sub_u32_e32 v42, v42, v40
	v_and_or_b32 v0, v22, s66, v0
	v_and_or_b32 v3, v18, s66, v3
	;; [unrolled: 1-line block ×3, first 2 shown]
	v_lshrrev_b32_e32 v11, 16, v16
	v_cmp_gt_i32_e32 vcc, 1, v42
	v_and_or_b32 v23, v10, s66, v11
	global_store_dwordx4 v[32:33], v[0:3], off nt
	global_store_dwordx4 v[32:33], v[20:23], off offset:1024 nt
	v_lshl_add_u64 v[44:45], v[44:45], 0, v[46:47]
	v_lshl_add_u64 v[54:55], v[54:55], 0, v[46:47]
	s_or_b64 s[42:43], vcc, s[42:43]
	v_lshl_add_u64 v[32:33], v[32:33], 0, v[46:47]
	s_andn2_b64 exec, exec, s[42:43]
	s_cbranch_execz .LBB6_188
.LBB6_124:                              ;   Parent Loop BB6_49 Depth=1
                                        ; =>  This Inner Loop Header: Depth=2
	global_load_dwordx4 v[18:21], v[54:55], off nt
	global_load_dwordx4 v[22:25], v[44:45], off nt
	global_load_dwordx4 v[14:17], v[44:45], off offset:1024 nt
	global_load_dwordx4 v[10:13], v[54:55], off offset:1024 nt
                                        ; implicit-def: $vgpr52
	s_waitcnt vmcnt(0)
	v_lshlrev_b32_e32 v0, 16, v18
	v_lshlrev_b32_e32 v2, 16, v22
	v_pk_mul_f32 v[2:3], v[0:1], v[2:3] op_sel_hi:[0,1]
	v_and_b32_e32 v0, 0x7f800000, v2
	v_cmp_ne_u32_e32 vcc, s64, v0
	s_and_saveexec_b64 s[44:45], vcc
	s_xor_b64 vcc, exec, s[44:45]
; %bb.125:                              ;   in Loop: Header=BB6_124 Depth=2
	v_bfe_u32 v0, v2, 16, 1
	v_add3_u32 v52, v2, v0, s65
                                        ; implicit-def: $vgpr2_vgpr3
; %bb.126:                              ;   in Loop: Header=BB6_124 Depth=2
	s_andn2_saveexec_b64 s[44:45], vcc
; %bb.127:                              ;   in Loop: Header=BB6_124 Depth=2
	v_or_b32_e32 v0, 0x10000, v2
	v_cmp_eq_u32_sdwa vcc, v2, v43 src0_sel:WORD_0 src1_sel:DWORD
	s_nop 1
	v_cndmask_b32_e32 v52, v0, v2, vcc
; %bb.128:                              ;   in Loop: Header=BB6_124 Depth=2
	s_or_b64 exec, exec, s[44:45]
	v_and_b32_e32 v0, 0xffff0000, v18
	v_and_b32_e32 v2, 0xffff0000, v22
	v_pk_mul_f32 v[2:3], v[0:1], v[2:3] op_sel_hi:[0,1]
	v_and_b32_e32 v0, 0x7f800000, v2
	v_cmp_ne_u32_e32 vcc, s64, v0
                                        ; implicit-def: $vgpr22
	s_and_saveexec_b64 s[44:45], vcc
	s_xor_b64 vcc, exec, s[44:45]
; %bb.129:                              ;   in Loop: Header=BB6_124 Depth=2
	v_bfe_u32 v0, v2, 16, 1
	v_add3_u32 v22, v2, v0, s65
                                        ; implicit-def: $vgpr2_vgpr3
; %bb.130:                              ;   in Loop: Header=BB6_124 Depth=2
	s_andn2_saveexec_b64 s[44:45], vcc
; %bb.131:                              ;   in Loop: Header=BB6_124 Depth=2
	v_or_b32_e32 v0, 0x10000, v2
	v_cmp_eq_u32_sdwa vcc, v2, v43 src0_sel:WORD_0 src1_sel:DWORD
	s_nop 1
	v_cndmask_b32_e32 v22, v0, v2, vcc
; %bb.132:                              ;   in Loop: Header=BB6_124 Depth=2
	s_or_b64 exec, exec, s[44:45]
	v_mov_b32_e32 v3, v19
	v_lshlrev_b32_e32 v0, 16, v3
	v_lshlrev_b32_e32 v2, 16, v23
	v_pk_mul_f32 v[18:19], v[0:1], v[2:3] op_sel_hi:[0,1]
	v_and_b32_e32 v0, 0x7f800000, v18
	v_cmp_ne_u32_e32 vcc, s64, v0
                                        ; implicit-def: $vgpr53
	s_and_saveexec_b64 s[44:45], vcc
	s_xor_b64 vcc, exec, s[44:45]
; %bb.133:                              ;   in Loop: Header=BB6_124 Depth=2
	v_bfe_u32 v0, v18, 16, 1
	v_add3_u32 v53, v18, v0, s65
                                        ; implicit-def: $vgpr18_vgpr19
; %bb.134:                              ;   in Loop: Header=BB6_124 Depth=2
	s_andn2_saveexec_b64 s[44:45], vcc
; %bb.135:                              ;   in Loop: Header=BB6_124 Depth=2
	v_or_b32_e32 v0, 0x10000, v18
	v_cmp_eq_u32_sdwa vcc, v18, v43 src0_sel:WORD_0 src1_sel:DWORD
	s_nop 1
	v_cndmask_b32_e32 v53, v0, v18, vcc
; %bb.136:                              ;   in Loop: Header=BB6_124 Depth=2
	s_or_b64 exec, exec, s[44:45]
	v_and_b32_e32 v0, 0xffff0000, v3
	v_and_b32_e32 v2, 0xffff0000, v23
	v_pk_mul_f32 v[2:3], v[0:1], v[2:3] op_sel_hi:[0,1]
	v_and_b32_e32 v0, 0x7f800000, v2
	v_cmp_ne_u32_e32 vcc, s64, v0
                                        ; implicit-def: $vgpr23
	s_and_saveexec_b64 s[44:45], vcc
	s_xor_b64 vcc, exec, s[44:45]
; %bb.137:                              ;   in Loop: Header=BB6_124 Depth=2
	v_bfe_u32 v0, v2, 16, 1
	v_add3_u32 v23, v2, v0, s65
                                        ; implicit-def: $vgpr2_vgpr3
; %bb.138:                              ;   in Loop: Header=BB6_124 Depth=2
	s_andn2_saveexec_b64 s[44:45], vcc
; %bb.139:                              ;   in Loop: Header=BB6_124 Depth=2
	v_or_b32_e32 v0, 0x10000, v2
	v_cmp_eq_u32_sdwa vcc, v2, v43 src0_sel:WORD_0 src1_sel:DWORD
	s_nop 1
	v_cndmask_b32_e32 v23, v0, v2, vcc
; %bb.140:                              ;   in Loop: Header=BB6_124 Depth=2
	s_or_b64 exec, exec, s[44:45]
	v_lshlrev_b32_e32 v0, 16, v20
	v_lshlrev_b32_e32 v2, 16, v24
	v_pk_mul_f32 v[2:3], v[0:1], v[2:3] op_sel_hi:[0,1]
	v_and_b32_e32 v0, 0x7f800000, v2
	v_cmp_ne_u32_e32 vcc, s64, v0
                                        ; implicit-def: $vgpr26
	s_and_saveexec_b64 s[44:45], vcc
	s_xor_b64 vcc, exec, s[44:45]
; %bb.141:                              ;   in Loop: Header=BB6_124 Depth=2
	v_bfe_u32 v0, v2, 16, 1
	v_add3_u32 v26, v2, v0, s65
                                        ; implicit-def: $vgpr2_vgpr3
; %bb.142:                              ;   in Loop: Header=BB6_124 Depth=2
	s_andn2_saveexec_b64 s[44:45], vcc
; %bb.143:                              ;   in Loop: Header=BB6_124 Depth=2
	v_or_b32_e32 v0, 0x10000, v2
	v_cmp_eq_u32_sdwa vcc, v2, v43 src0_sel:WORD_0 src1_sel:DWORD
	s_nop 1
	v_cndmask_b32_e32 v26, v0, v2, vcc
; %bb.144:                              ;   in Loop: Header=BB6_124 Depth=2
	s_or_b64 exec, exec, s[44:45]
	v_and_b32_e32 v0, 0xffff0000, v20
	v_and_b32_e32 v2, 0xffff0000, v24
	v_pk_mul_f32 v[2:3], v[0:1], v[2:3] op_sel_hi:[0,1]
	v_and_b32_e32 v0, 0x7f800000, v2
	v_cmp_ne_u32_e32 vcc, s64, v0
                                        ; implicit-def: $vgpr20
	s_and_saveexec_b64 s[44:45], vcc
	s_xor_b64 vcc, exec, s[44:45]
; %bb.145:                              ;   in Loop: Header=BB6_124 Depth=2
	v_bfe_u32 v0, v2, 16, 1
	v_add3_u32 v20, v2, v0, s65
                                        ; implicit-def: $vgpr2_vgpr3
; %bb.146:                              ;   in Loop: Header=BB6_124 Depth=2
	s_andn2_saveexec_b64 s[44:45], vcc
; %bb.147:                              ;   in Loop: Header=BB6_124 Depth=2
	v_or_b32_e32 v0, 0x10000, v2
	v_cmp_eq_u32_sdwa vcc, v2, v43 src0_sel:WORD_0 src1_sel:DWORD
	s_nop 1
	v_cndmask_b32_e32 v20, v0, v2, vcc
; %bb.148:                              ;   in Loop: Header=BB6_124 Depth=2
	s_or_b64 exec, exec, s[44:45]
	v_mov_b32_e32 v3, v25
	v_lshlrev_b32_e32 v0, 16, v21
	v_lshlrev_b32_e32 v2, 16, v3
	v_pk_mul_f32 v[18:19], v[0:1], v[2:3] op_sel_hi:[0,1]
	v_and_b32_e32 v0, 0x7f800000, v18
	v_cmp_ne_u32_e32 vcc, s64, v0
                                        ; implicit-def: $vgpr24
	s_and_saveexec_b64 s[44:45], vcc
	s_xor_b64 vcc, exec, s[44:45]
; %bb.149:                              ;   in Loop: Header=BB6_124 Depth=2
	v_bfe_u32 v0, v18, 16, 1
	v_add3_u32 v24, v18, v0, s65
                                        ; implicit-def: $vgpr18_vgpr19
; %bb.150:                              ;   in Loop: Header=BB6_124 Depth=2
	s_andn2_saveexec_b64 s[44:45], vcc
; %bb.151:                              ;   in Loop: Header=BB6_124 Depth=2
	v_or_b32_e32 v0, 0x10000, v18
	v_cmp_eq_u32_sdwa vcc, v18, v43 src0_sel:WORD_0 src1_sel:DWORD
	s_nop 1
	v_cndmask_b32_e32 v24, v0, v18, vcc
; %bb.152:                              ;   in Loop: Header=BB6_124 Depth=2
	s_or_b64 exec, exec, s[44:45]
	v_and_b32_e32 v0, 0xffff0000, v21
	v_and_b32_e32 v2, 0xffff0000, v3
	v_pk_mul_f32 v[2:3], v[0:1], v[2:3] op_sel_hi:[0,1]
	v_and_b32_e32 v0, 0x7f800000, v2
	v_cmp_ne_u32_e32 vcc, s64, v0
                                        ; implicit-def: $vgpr18
	s_and_saveexec_b64 s[44:45], vcc
	s_xor_b64 vcc, exec, s[44:45]
; %bb.153:                              ;   in Loop: Header=BB6_124 Depth=2
	v_bfe_u32 v0, v2, 16, 1
	v_add3_u32 v18, v2, v0, s65
                                        ; implicit-def: $vgpr2_vgpr3
; %bb.154:                              ;   in Loop: Header=BB6_124 Depth=2
	s_andn2_saveexec_b64 s[44:45], vcc
; %bb.155:                              ;   in Loop: Header=BB6_124 Depth=2
	v_or_b32_e32 v0, 0x10000, v2
	v_cmp_eq_u32_sdwa vcc, v2, v43 src0_sel:WORD_0 src1_sel:DWORD
	s_nop 1
	v_cndmask_b32_e32 v18, v0, v2, vcc
; %bb.156:                              ;   in Loop: Header=BB6_124 Depth=2
	s_or_b64 exec, exec, s[44:45]
	v_lshlrev_b32_e32 v0, 16, v10
	v_lshlrev_b32_e32 v2, 16, v14
	v_pk_mul_f32 v[2:3], v[0:1], v[2:3] op_sel_hi:[0,1]
	v_and_b32_e32 v0, 0x7f800000, v2
	v_cmp_ne_u32_e32 vcc, s64, v0
                                        ; implicit-def: $vgpr19
	s_and_saveexec_b64 s[44:45], vcc
	s_xor_b64 vcc, exec, s[44:45]
; %bb.157:                              ;   in Loop: Header=BB6_124 Depth=2
	v_bfe_u32 v0, v2, 16, 1
	v_add3_u32 v19, v2, v0, s65
                                        ; implicit-def: $vgpr2_vgpr3
; %bb.158:                              ;   in Loop: Header=BB6_124 Depth=2
	s_andn2_saveexec_b64 s[44:45], vcc
; %bb.159:                              ;   in Loop: Header=BB6_124 Depth=2
	v_or_b32_e32 v0, 0x10000, v2
	v_cmp_eq_u32_sdwa vcc, v2, v43 src0_sel:WORD_0 src1_sel:DWORD
	s_nop 1
	v_cndmask_b32_e32 v19, v0, v2, vcc
; %bb.160:                              ;   in Loop: Header=BB6_124 Depth=2
	s_or_b64 exec, exec, s[44:45]
	v_and_b32_e32 v0, 0xffff0000, v10
	v_and_b32_e32 v2, 0xffff0000, v14
	v_pk_mul_f32 v[2:3], v[0:1], v[2:3] op_sel_hi:[0,1]
	v_and_b32_e32 v0, 0x7f800000, v2
	v_cmp_ne_u32_e32 vcc, s64, v0
                                        ; implicit-def: $vgpr14
	s_and_saveexec_b64 s[44:45], vcc
	s_xor_b64 vcc, exec, s[44:45]
; %bb.161:                              ;   in Loop: Header=BB6_124 Depth=2
	v_bfe_u32 v0, v2, 16, 1
	v_add3_u32 v14, v2, v0, s65
                                        ; implicit-def: $vgpr2_vgpr3
; %bb.162:                              ;   in Loop: Header=BB6_124 Depth=2
	s_andn2_saveexec_b64 s[44:45], vcc
; %bb.163:                              ;   in Loop: Header=BB6_124 Depth=2
	v_or_b32_e32 v0, 0x10000, v2
	v_cmp_eq_u32_sdwa vcc, v2, v43 src0_sel:WORD_0 src1_sel:DWORD
	s_nop 1
	v_cndmask_b32_e32 v14, v0, v2, vcc
; %bb.164:                              ;   in Loop: Header=BB6_124 Depth=2
	s_or_b64 exec, exec, s[44:45]
	v_mov_b32_e32 v3, v11
	v_lshlrev_b32_e32 v0, 16, v3
	v_lshlrev_b32_e32 v2, 16, v15
	v_pk_mul_f32 v[10:11], v[0:1], v[2:3] op_sel_hi:[0,1]
	v_and_b32_e32 v0, 0x7f800000, v10
	v_cmp_ne_u32_e32 vcc, s64, v0
                                        ; implicit-def: $vgpr21
	s_and_saveexec_b64 s[44:45], vcc
	s_xor_b64 vcc, exec, s[44:45]
; %bb.165:                              ;   in Loop: Header=BB6_124 Depth=2
	v_bfe_u32 v0, v10, 16, 1
	v_add3_u32 v21, v10, v0, s65
                                        ; implicit-def: $vgpr10_vgpr11
; %bb.166:                              ;   in Loop: Header=BB6_124 Depth=2
	s_andn2_saveexec_b64 s[44:45], vcc
; %bb.167:                              ;   in Loop: Header=BB6_124 Depth=2
	v_or_b32_e32 v0, 0x10000, v10
	v_cmp_eq_u32_sdwa vcc, v10, v43 src0_sel:WORD_0 src1_sel:DWORD
	s_nop 1
	v_cndmask_b32_e32 v21, v0, v10, vcc
; %bb.168:                              ;   in Loop: Header=BB6_124 Depth=2
	s_or_b64 exec, exec, s[44:45]
	v_and_b32_e32 v0, 0xffff0000, v3
	v_and_b32_e32 v2, 0xffff0000, v15
	v_pk_mul_f32 v[2:3], v[0:1], v[2:3] op_sel_hi:[0,1]
	v_and_b32_e32 v0, 0x7f800000, v2
	v_cmp_ne_u32_e32 vcc, s64, v0
                                        ; implicit-def: $vgpr15
	s_and_saveexec_b64 s[44:45], vcc
	s_xor_b64 vcc, exec, s[44:45]
; %bb.169:                              ;   in Loop: Header=BB6_124 Depth=2
	v_bfe_u32 v0, v2, 16, 1
	v_add3_u32 v15, v2, v0, s65
                                        ; implicit-def: $vgpr2_vgpr3
; %bb.170:                              ;   in Loop: Header=BB6_124 Depth=2
	s_andn2_saveexec_b64 s[44:45], vcc
; %bb.171:                              ;   in Loop: Header=BB6_124 Depth=2
	v_or_b32_e32 v0, 0x10000, v2
	v_cmp_eq_u32_sdwa vcc, v2, v43 src0_sel:WORD_0 src1_sel:DWORD
	s_nop 1
	v_cndmask_b32_e32 v15, v0, v2, vcc
; %bb.172:                              ;   in Loop: Header=BB6_124 Depth=2
	s_or_b64 exec, exec, s[44:45]
	v_lshlrev_b32_e32 v0, 16, v12
	v_lshlrev_b32_e32 v2, 16, v16
	v_pk_mul_f32 v[2:3], v[0:1], v[2:3] op_sel_hi:[0,1]
	v_and_b32_e32 v0, 0x7f800000, v2
	v_cmp_ne_u32_e32 vcc, s64, v0
                                        ; implicit-def: $vgpr25
	s_and_saveexec_b64 s[44:45], vcc
	s_xor_b64 vcc, exec, s[44:45]
; %bb.173:                              ;   in Loop: Header=BB6_124 Depth=2
	v_bfe_u32 v0, v2, 16, 1
	v_add3_u32 v25, v2, v0, s65
                                        ; implicit-def: $vgpr2_vgpr3
; %bb.174:                              ;   in Loop: Header=BB6_124 Depth=2
	s_andn2_saveexec_b64 s[44:45], vcc
; %bb.175:                              ;   in Loop: Header=BB6_124 Depth=2
	v_or_b32_e32 v0, 0x10000, v2
	v_cmp_eq_u32_sdwa vcc, v2, v43 src0_sel:WORD_0 src1_sel:DWORD
	s_nop 1
	v_cndmask_b32_e32 v25, v0, v2, vcc
; %bb.176:                              ;   in Loop: Header=BB6_124 Depth=2
	s_or_b64 exec, exec, s[44:45]
	v_and_b32_e32 v0, 0xffff0000, v12
	v_and_b32_e32 v2, 0xffff0000, v16
	v_pk_mul_f32 v[2:3], v[0:1], v[2:3] op_sel_hi:[0,1]
	v_and_b32_e32 v0, 0x7f800000, v2
	v_cmp_ne_u32_e32 vcc, s64, v0
                                        ; implicit-def: $vgpr12
	s_and_saveexec_b64 s[44:45], vcc
	s_xor_b64 vcc, exec, s[44:45]
; %bb.177:                              ;   in Loop: Header=BB6_124 Depth=2
	v_bfe_u32 v0, v2, 16, 1
	v_add3_u32 v12, v2, v0, s65
                                        ; implicit-def: $vgpr2_vgpr3
; %bb.178:                              ;   in Loop: Header=BB6_124 Depth=2
	s_andn2_saveexec_b64 s[44:45], vcc
; %bb.179:                              ;   in Loop: Header=BB6_124 Depth=2
	v_or_b32_e32 v0, 0x10000, v2
	v_cmp_eq_u32_sdwa vcc, v2, v43 src0_sel:WORD_0 src1_sel:DWORD
	s_nop 1
	v_cndmask_b32_e32 v12, v0, v2, vcc
; %bb.180:                              ;   in Loop: Header=BB6_124 Depth=2
	s_or_b64 exec, exec, s[44:45]
	v_mov_b32_e32 v3, v17
	v_lshlrev_b32_e32 v0, 16, v13
	v_lshlrev_b32_e32 v2, 16, v3
	v_pk_mul_f32 v[10:11], v[0:1], v[2:3] op_sel_hi:[0,1]
	v_and_b32_e32 v0, 0x7f800000, v10
	v_cmp_ne_u32_e32 vcc, s64, v0
                                        ; implicit-def: $vgpr16
	s_and_saveexec_b64 s[44:45], vcc
	s_xor_b64 vcc, exec, s[44:45]
; %bb.181:                              ;   in Loop: Header=BB6_124 Depth=2
	v_bfe_u32 v0, v10, 16, 1
	v_add3_u32 v16, v10, v0, s65
                                        ; implicit-def: $vgpr10_vgpr11
; %bb.182:                              ;   in Loop: Header=BB6_124 Depth=2
	s_andn2_saveexec_b64 s[44:45], vcc
; %bb.183:                              ;   in Loop: Header=BB6_124 Depth=2
	v_or_b32_e32 v0, 0x10000, v10
	v_cmp_eq_u32_sdwa vcc, v10, v43 src0_sel:WORD_0 src1_sel:DWORD
	s_nop 1
	v_cndmask_b32_e32 v16, v0, v10, vcc
; %bb.184:                              ;   in Loop: Header=BB6_124 Depth=2
	s_or_b64 exec, exec, s[44:45]
	v_and_b32_e32 v0, 0xffff0000, v13
	v_and_b32_e32 v2, 0xffff0000, v3
	v_pk_mul_f32 v[2:3], v[0:1], v[2:3] op_sel_hi:[0,1]
	v_and_b32_e32 v0, 0x7f800000, v2
	v_cmp_ne_u32_e32 vcc, s64, v0
                                        ; implicit-def: $vgpr10
	s_and_saveexec_b64 s[44:45], vcc
	s_xor_b64 vcc, exec, s[44:45]
; %bb.185:                              ;   in Loop: Header=BB6_124 Depth=2
	v_bfe_u32 v0, v2, 16, 1
	v_add3_u32 v10, v2, v0, s65
                                        ; implicit-def: $vgpr2_vgpr3
; %bb.186:                              ;   in Loop: Header=BB6_124 Depth=2
	s_andn2_saveexec_b64 s[44:45], vcc
	s_cbranch_execz .LBB6_123
; %bb.187:                              ;   in Loop: Header=BB6_124 Depth=2
	v_or_b32_e32 v0, 0x10000, v2
	v_cmp_eq_u32_sdwa vcc, v2, v43 src0_sel:WORD_0 src1_sel:DWORD
	s_nop 1
	v_cndmask_b32_e32 v10, v0, v2, vcc
	s_branch .LBB6_123
.LBB6_188:                              ;   in Loop: Header=BB6_49 Depth=1
	s_or_b64 exec, exec, s[42:43]
	v_mov_b32_e32 v45, v27
	v_accvgpr_read_b32 v55, a12
	v_accvgpr_read_b32 v44, a13
	;; [unrolled: 1-line block ×3, first 2 shown]
.LBB6_189:                              ;   in Loop: Header=BB6_49 Depth=1
	s_or_b64 exec, exec, s[18:19]
	v_lshlrev_b32_e32 v24, 11, v0
	v_cmp_ne_u32_e32 vcc, v49, v24
	s_mov_b64 s[44:45], 0
	v_mov_b32_e32 v16, 0
                                        ; implicit-def: $vgpr17
                                        ; implicit-def: $vgpr2
	s_and_saveexec_b64 s[42:43], vcc
	s_cbranch_execz .LBB6_229
; %bb.190:                              ;   in Loop: Header=BB6_49 Depth=1
	v_lshlrev_b32_e32 v1, 6, v42
	v_sub_u32_e32 v1, v31, v1
	v_ashrrev_i32_e32 v2, 31, v1
	v_lshrrev_b32_e32 v2, 26, v2
	v_add_u32_e32 v2, v1, v2
	v_ashrrev_i32_e32 v3, 6, v2
	v_and_b32_e32 v2, 0xffffffc0, v2
	v_sub_u32_e32 v25, v1, v2
	v_sub_u32_e32 v0, v49, v24
	v_lshlrev_b32_e32 v1, 4, v25
	v_lshl_add_u32 v2, v3, 10, v1
	v_ashrrev_i32_e32 v1, 31, v0
	v_lshrrev_b32_e32 v1, 22, v1
	v_add_u32_e32 v1, v0, v1
	v_and_b32_e32 v26, 0xfffffc00, v1
	v_sub_u32_e32 v32, v0, v26
	v_ashrrev_i32_e32 v10, 10, v1
	v_cmp_lt_i32_e32 vcc, 15, v32
	v_sub_u32_e32 v33, v0, v2
	s_nop 0
	v_addc_co_u32_e64 v0, s[18:19], 0, v10, vcc
	v_sub_u32_e32 v27, v0, v3
	v_cmp_lt_i32_e64 s[18:19], 15, v33
	s_and_saveexec_b64 s[44:45], s[18:19]
	s_cbranch_execz .LBB6_226
; %bb.191:                              ;   in Loop: Header=BB6_49 Depth=1
	s_trap 2
	ds_read_b128 v[10:13], v0
	ds_read_b64 v[0:1], v0
	v_add_u32_e32 v2, v2, v24
	v_ashrrev_i32_e32 v3, 31, v2
	s_mov_b64 s[46:47], 0
	s_waitcnt lgkmcnt(0)
	v_lshl_add_u64 v[18:19], v[10:11], 0, v[2:3]
	v_lshl_add_u64 v[20:21], v[12:13], 0, v[2:3]
	;; [unrolled: 1-line block ×3, first 2 shown]
	s_branch .LBB6_193
.LBB6_192:                              ;   in Loop: Header=BB6_193 Depth=2
	s_or_b64 exec, exec, s[48:49]
	v_lshrrev_b32_e32 v0, 16, v53
	v_and_or_b32 v1, v15, s66, v0
	v_lshrrev_b32_e32 v0, 16, v52
	v_lshrrev_b32_e32 v2, 16, v54
	;; [unrolled: 1-line block ×3, first 2 shown]
	v_sub_u32_e32 v33, v33, v44
	v_and_or_b32 v0, v14, s66, v0
	v_and_or_b32 v2, v12, s66, v2
	;; [unrolled: 1-line block ×3, first 2 shown]
	v_cmp_gt_i32_e64 s[18:19], 16, v33
	global_store_dwordx4 v[22:23], v[0:3], off nt
	v_lshl_add_u64 v[18:19], v[18:19], 0, v[56:57]
	v_lshl_add_u64 v[20:21], v[20:21], 0, v[56:57]
	;; [unrolled: 1-line block ×3, first 2 shown]
	s_or_b64 s[46:47], s[18:19], s[46:47]
	v_sub_u32_e32 v27, v27, v40
	s_andn2_b64 exec, exec, s[46:47]
	s_cbranch_execz .LBB6_225
.LBB6_193:                              ;   Parent Loop BB6_49 Depth=1
                                        ; =>  This Inner Loop Header: Depth=2
	global_load_dwordx4 v[10:13], v[20:21], off nt
	global_load_dwordx4 v[14:17], v[18:19], off nt
                                        ; implicit-def: $vgpr52
	s_waitcnt vmcnt(0)
	v_lshlrev_b32_e32 v0, 16, v10
	v_lshlrev_b32_e32 v2, 16, v14
	v_pk_mul_f32 v[2:3], v[0:1], v[2:3] op_sel_hi:[0,1]
	v_and_b32_e32 v0, 0x7f800000, v2
	v_cmp_ne_u32_e64 s[18:19], s64, v0
	s_and_saveexec_b64 s[48:49], s[18:19]
	s_xor_b64 s[18:19], exec, s[48:49]
; %bb.194:                              ;   in Loop: Header=BB6_193 Depth=2
	v_bfe_u32 v0, v2, 16, 1
	v_add3_u32 v52, v2, v0, s65
                                        ; implicit-def: $vgpr2_vgpr3
; %bb.195:                              ;   in Loop: Header=BB6_193 Depth=2
	s_andn2_saveexec_b64 s[48:49], s[18:19]
; %bb.196:                              ;   in Loop: Header=BB6_193 Depth=2
	v_or_b32_e32 v0, 0x10000, v2
	v_cmp_eq_u32_sdwa s[18:19], v2, v43 src0_sel:WORD_0 src1_sel:DWORD
	s_nop 1
	v_cndmask_b32_e64 v52, v0, v2, s[18:19]
; %bb.197:                              ;   in Loop: Header=BB6_193 Depth=2
	s_or_b64 exec, exec, s[48:49]
	v_and_b32_e32 v0, 0xffff0000, v10
	v_and_b32_e32 v2, 0xffff0000, v14
	v_pk_mul_f32 v[2:3], v[0:1], v[2:3] op_sel_hi:[0,1]
	v_and_b32_e32 v0, 0x7f800000, v2
	v_cmp_ne_u32_e64 s[18:19], s64, v0
                                        ; implicit-def: $vgpr14
	s_and_saveexec_b64 s[48:49], s[18:19]
	s_xor_b64 s[18:19], exec, s[48:49]
; %bb.198:                              ;   in Loop: Header=BB6_193 Depth=2
	v_bfe_u32 v0, v2, 16, 1
	v_add3_u32 v14, v2, v0, s65
                                        ; implicit-def: $vgpr2_vgpr3
; %bb.199:                              ;   in Loop: Header=BB6_193 Depth=2
	s_andn2_saveexec_b64 s[48:49], s[18:19]
; %bb.200:                              ;   in Loop: Header=BB6_193 Depth=2
	v_or_b32_e32 v0, 0x10000, v2
	v_cmp_eq_u32_sdwa s[18:19], v2, v43 src0_sel:WORD_0 src1_sel:DWORD
	s_nop 1
	v_cndmask_b32_e64 v14, v0, v2, s[18:19]
; %bb.201:                              ;   in Loop: Header=BB6_193 Depth=2
	s_or_b64 exec, exec, s[48:49]
	v_mov_b32_e32 v3, v11
	v_lshlrev_b32_e32 v0, 16, v3
	v_lshlrev_b32_e32 v2, 16, v15
	v_pk_mul_f32 v[10:11], v[0:1], v[2:3] op_sel_hi:[0,1]
	v_and_b32_e32 v0, 0x7f800000, v10
	v_cmp_ne_u32_e64 s[18:19], s64, v0
                                        ; implicit-def: $vgpr53
	s_and_saveexec_b64 s[48:49], s[18:19]
	s_xor_b64 s[18:19], exec, s[48:49]
; %bb.202:                              ;   in Loop: Header=BB6_193 Depth=2
	v_bfe_u32 v0, v10, 16, 1
	v_add3_u32 v53, v10, v0, s65
                                        ; implicit-def: $vgpr10_vgpr11
; %bb.203:                              ;   in Loop: Header=BB6_193 Depth=2
	s_andn2_saveexec_b64 s[48:49], s[18:19]
; %bb.204:                              ;   in Loop: Header=BB6_193 Depth=2
	v_or_b32_e32 v0, 0x10000, v10
	v_cmp_eq_u32_sdwa s[18:19], v10, v43 src0_sel:WORD_0 src1_sel:DWORD
	s_nop 1
	v_cndmask_b32_e64 v53, v0, v10, s[18:19]
; %bb.205:                              ;   in Loop: Header=BB6_193 Depth=2
	s_or_b64 exec, exec, s[48:49]
	v_and_b32_e32 v0, 0xffff0000, v3
	v_and_b32_e32 v2, 0xffff0000, v15
	v_pk_mul_f32 v[2:3], v[0:1], v[2:3] op_sel_hi:[0,1]
	v_and_b32_e32 v0, 0x7f800000, v2
	v_cmp_ne_u32_e64 s[18:19], s64, v0
                                        ; implicit-def: $vgpr15
	s_and_saveexec_b64 s[48:49], s[18:19]
	s_xor_b64 s[18:19], exec, s[48:49]
; %bb.206:                              ;   in Loop: Header=BB6_193 Depth=2
	v_bfe_u32 v0, v2, 16, 1
	v_add3_u32 v15, v2, v0, s65
                                        ; implicit-def: $vgpr2_vgpr3
; %bb.207:                              ;   in Loop: Header=BB6_193 Depth=2
	s_andn2_saveexec_b64 s[48:49], s[18:19]
; %bb.208:                              ;   in Loop: Header=BB6_193 Depth=2
	v_or_b32_e32 v0, 0x10000, v2
	v_cmp_eq_u32_sdwa s[18:19], v2, v43 src0_sel:WORD_0 src1_sel:DWORD
	s_nop 1
	v_cndmask_b32_e64 v15, v0, v2, s[18:19]
; %bb.209:                              ;   in Loop: Header=BB6_193 Depth=2
	s_or_b64 exec, exec, s[48:49]
	v_lshlrev_b32_e32 v0, 16, v12
	v_lshlrev_b32_e32 v2, 16, v16
	v_pk_mul_f32 v[2:3], v[0:1], v[2:3] op_sel_hi:[0,1]
	v_and_b32_e32 v0, 0x7f800000, v2
	v_cmp_ne_u32_e64 s[18:19], s64, v0
                                        ; implicit-def: $vgpr54
	s_and_saveexec_b64 s[48:49], s[18:19]
	s_xor_b64 s[18:19], exec, s[48:49]
; %bb.210:                              ;   in Loop: Header=BB6_193 Depth=2
	v_bfe_u32 v0, v2, 16, 1
	v_add3_u32 v54, v2, v0, s65
                                        ; implicit-def: $vgpr2_vgpr3
; %bb.211:                              ;   in Loop: Header=BB6_193 Depth=2
	s_andn2_saveexec_b64 s[48:49], s[18:19]
; %bb.212:                              ;   in Loop: Header=BB6_193 Depth=2
	v_or_b32_e32 v0, 0x10000, v2
	v_cmp_eq_u32_sdwa s[18:19], v2, v43 src0_sel:WORD_0 src1_sel:DWORD
	s_nop 1
	v_cndmask_b32_e64 v54, v0, v2, s[18:19]
; %bb.213:                              ;   in Loop: Header=BB6_193 Depth=2
	s_or_b64 exec, exec, s[48:49]
	v_and_b32_e32 v0, 0xffff0000, v12
	v_and_b32_e32 v2, 0xffff0000, v16
	v_pk_mul_f32 v[2:3], v[0:1], v[2:3] op_sel_hi:[0,1]
	v_and_b32_e32 v0, 0x7f800000, v2
	v_cmp_ne_u32_e64 s[18:19], s64, v0
                                        ; implicit-def: $vgpr12
	s_and_saveexec_b64 s[48:49], s[18:19]
	s_xor_b64 s[18:19], exec, s[48:49]
; %bb.214:                              ;   in Loop: Header=BB6_193 Depth=2
	v_bfe_u32 v0, v2, 16, 1
	v_add3_u32 v12, v2, v0, s65
                                        ; implicit-def: $vgpr2_vgpr3
; %bb.215:                              ;   in Loop: Header=BB6_193 Depth=2
	s_andn2_saveexec_b64 s[48:49], s[18:19]
; %bb.216:                              ;   in Loop: Header=BB6_193 Depth=2
	v_or_b32_e32 v0, 0x10000, v2
	v_cmp_eq_u32_sdwa s[18:19], v2, v43 src0_sel:WORD_0 src1_sel:DWORD
	s_nop 1
	v_cndmask_b32_e64 v12, v0, v2, s[18:19]
; %bb.217:                              ;   in Loop: Header=BB6_193 Depth=2
	s_or_b64 exec, exec, s[48:49]
	v_mov_b32_e32 v3, v17
	v_lshlrev_b32_e32 v0, 16, v13
	v_lshlrev_b32_e32 v2, 16, v3
	v_pk_mul_f32 v[10:11], v[0:1], v[2:3] op_sel_hi:[0,1]
	v_and_b32_e32 v0, 0x7f800000, v10
	v_cmp_ne_u32_e64 s[18:19], s64, v0
                                        ; implicit-def: $vgpr16
	s_and_saveexec_b64 s[48:49], s[18:19]
	s_xor_b64 s[18:19], exec, s[48:49]
; %bb.218:                              ;   in Loop: Header=BB6_193 Depth=2
	v_bfe_u32 v0, v10, 16, 1
	v_add3_u32 v16, v10, v0, s65
                                        ; implicit-def: $vgpr10_vgpr11
; %bb.219:                              ;   in Loop: Header=BB6_193 Depth=2
	s_andn2_saveexec_b64 s[48:49], s[18:19]
; %bb.220:                              ;   in Loop: Header=BB6_193 Depth=2
	v_or_b32_e32 v0, 0x10000, v10
	v_cmp_eq_u32_sdwa s[18:19], v10, v43 src0_sel:WORD_0 src1_sel:DWORD
	s_nop 1
	v_cndmask_b32_e64 v16, v0, v10, s[18:19]
; %bb.221:                              ;   in Loop: Header=BB6_193 Depth=2
	s_or_b64 exec, exec, s[48:49]
	v_and_b32_e32 v0, 0xffff0000, v13
	v_and_b32_e32 v2, 0xffff0000, v3
	v_pk_mul_f32 v[2:3], v[0:1], v[2:3] op_sel_hi:[0,1]
	v_and_b32_e32 v0, 0x7f800000, v2
	v_cmp_ne_u32_e64 s[18:19], s64, v0
                                        ; implicit-def: $vgpr10
	s_and_saveexec_b64 s[48:49], s[18:19]
	s_xor_b64 s[18:19], exec, s[48:49]
; %bb.222:                              ;   in Loop: Header=BB6_193 Depth=2
	v_bfe_u32 v0, v2, 16, 1
	v_add3_u32 v10, v2, v0, s65
                                        ; implicit-def: $vgpr2_vgpr3
; %bb.223:                              ;   in Loop: Header=BB6_193 Depth=2
	s_andn2_saveexec_b64 s[48:49], s[18:19]
	s_cbranch_execz .LBB6_192
; %bb.224:                              ;   in Loop: Header=BB6_193 Depth=2
	v_or_b32_e32 v0, 0x10000, v2
	v_cmp_eq_u32_sdwa s[18:19], v2, v43 src0_sel:WORD_0 src1_sel:DWORD
	s_nop 1
	v_cndmask_b32_e64 v10, v0, v2, s[18:19]
	s_branch .LBB6_192
.LBB6_225:                              ;   in Loop: Header=BB6_49 Depth=1
	s_or_b64 exec, exec, s[46:47]
.LBB6_226:                              ;   in Loop: Header=BB6_49 Depth=1
	s_or_b64 exec, exec, s[44:45]
	v_and_b32_e32 v3, 14, v49
	v_cndmask_b32_e32 v49, v32, v3, vcc
	v_cmp_ne_u32_e64 s[18:19], 0, v49
	s_mov_b64 s[44:45], 0
	v_mov_b32_e32 v16, 0
                                        ; implicit-def: $vgpr17
                                        ; implicit-def: $vgpr2
	s_and_saveexec_b64 s[46:47], s[18:19]
	s_cbranch_execz .LBB6_228
; %bb.227:                              ;   in Loop: Header=BB6_49 Depth=1
	v_sub_u32_e32 v0, v32, v3
	v_cndmask_b32_e32 v0, 0, v0, vcc
	v_cmp_lt_i32_e32 vcc, 0, v27
	v_add3_u32 v16, v26, v24, v0
	s_mov_b64 s[44:45], exec
	v_cndmask_b32_e32 v0, 0, v40, vcc
	v_sub_u32_e32 v0, v0, v27
	v_lshl_add_u32 v17, v0, 6, v25
	v_ashrrev_i32_e32 v0, 31, v17
	v_lshrrev_b32_e32 v0, 26, v0
	v_add_u32_e32 v0, v17, v0
	v_ashrrev_i32_e32 v2, 6, v0
.LBB6_228:                              ;   in Loop: Header=BB6_49 Depth=1
	s_or_b64 exec, exec, s[46:47]
	s_and_b64 s[44:45], s[44:45], exec
.LBB6_229:                              ;   in Loop: Header=BB6_49 Depth=1
	s_or_b64 exec, exec, s[42:43]
	s_and_saveexec_b64 s[18:19], s[44:45]
	s_cbranch_execz .LBB6_274
.LBB6_230:                              ;   in Loop: Header=BB6_49 Depth=1
	v_ashrrev_i32_e32 v0, 31, v49
	v_lshrrev_b32_e32 v0, 22, v0
	v_add_u32_e32 v0, v49, v0
	v_ashrrev_i32_e32 v20, 10, v0
	v_sub_u32_e32 v18, v20, v2
	v_ashrrev_i32_e32 v0, 31, v17
	v_cmp_lt_i32_e32 vcc, 0, v18
	v_lshrrev_b32_e32 v19, 26, v0
	s_and_saveexec_b64 s[42:43], vcc
	s_cbranch_execz .LBB6_266
; %bb.231:                              ;   in Loop: Header=BB6_49 Depth=1
	v_add_u32_e32 v0, v17, v19
	v_and_b32_e32 v0, 0x7fffffc0, v0
	v_sub_u32_e32 v0, v17, v0
	s_trap 2
	v_lshlrev_b32_e32 v3, 1, v0
	ds_read_b128 v[10:13], v0
	ds_read_b64 v[0:1], v0
	v_lshlrev_b32_e32 v2, 10, v2
	v_add3_u32 v2, v3, v16, v2
	v_ashrrev_i32_e32 v3, 31, v2
	s_waitcnt lgkmcnt(0)
	v_lshl_add_u64 v[10:11], v[10:11], 0, v[2:3]
	v_lshl_add_u64 v[0:1], v[0:1], 0, s[36:37]
	;; [unrolled: 1-line block ×4, first 2 shown]
	s_mov_b64 s[44:45], 0
	s_branch .LBB6_233
.LBB6_232:                              ;   in Loop: Header=BB6_233 Depth=2
	s_or_b64 exec, exec, s[46:47]
	v_add_co_u32_e32 v0, vcc, 0xfffffc80, v14
	v_sub_u32_e32 v18, v18, v40
	s_nop 0
	v_addc_co_u32_e32 v1, vcc, -1, v15, vcc
	flat_store_short_d16_hi v[0:1], v21 nt
	v_add_co_u32_e32 v0, vcc, 0xfffffd00, v14
	v_lshl_add_u64 v[10:11], v[10:11], 0, v[56:57]
	s_nop 0
	v_addc_co_u32_e32 v1, vcc, -1, v15, vcc
	flat_store_short_d16_hi v[0:1], v24 nt
	v_add_co_u32_e32 v0, vcc, 0xfffffd80, v14
	v_lshl_add_u64 v[12:13], v[12:13], 0, v[56:57]
	s_nop 0
	v_addc_co_u32_e32 v1, vcc, -1, v15, vcc
	flat_store_short_d16_hi v[0:1], v27 nt
	v_add_co_u32_e32 v0, vcc, 0xfffffe00, v14
	s_nop 1
	v_addc_co_u32_e32 v1, vcc, -1, v15, vcc
	flat_store_short_d16_hi v[0:1], v33 nt
	v_add_co_u32_e32 v0, vcc, 0xfffffe80, v14
	s_nop 1
	v_addc_co_u32_e32 v1, vcc, -1, v15, vcc
	flat_store_short_d16_hi v[0:1], v53 nt
	v_add_co_u32_e32 v0, vcc, 0xffffff00, v14
	s_nop 1
	v_addc_co_u32_e32 v1, vcc, -1, v15, vcc
	flat_store_short_d16_hi v[0:1], v32 nt
	v_add_co_u32_e32 v0, vcc, 0xffffff80, v14
	s_nop 1
	v_addc_co_u32_e32 v1, vcc, -1, v15, vcc
	v_cmp_gt_i32_e32 vcc, 1, v18
	flat_store_short_d16_hi v[0:1], v25 nt
	flat_store_short_d16_hi v[14:15], v22 nt
	s_or_b64 s[44:45], vcc, s[44:45]
	v_lshl_add_u64 v[14:15], v[14:15], 0, v[56:57]
	s_andn2_b64 exec, exec, s[44:45]
	s_cbranch_execz .LBB6_265
.LBB6_233:                              ;   Parent Loop BB6_49 Depth=1
                                        ; =>  This Inner Loop Header: Depth=2
	flat_load_ushort v27, v[10:11] offset:256 nt
	flat_load_ushort v33, v[10:11] offset:384 nt
	flat_load_ushort v53, v[10:11] offset:512 nt
	flat_load_ushort v32, v[10:11] offset:640 nt
	flat_load_ushort v25, v[10:11] offset:768 nt
	flat_load_ushort v22, v[10:11] offset:896 nt
	flat_load_ushort v42, v[12:13] offset:256 nt
	flat_load_ushort v55, v[12:13] offset:384 nt
	flat_load_ushort v54, v[12:13] offset:512 nt
	flat_load_ushort v52, v[12:13] offset:640 nt
	flat_load_ushort v26, v[12:13] offset:768 nt
	flat_load_ushort v23, v[12:13] offset:896 nt
	flat_load_ushort v0, v[12:13] nt
	flat_load_ushort v1, v[10:11] nt
	flat_load_ushort v24, v[10:11] offset:128 nt
	flat_load_ushort v44, v[12:13] offset:128 nt
                                        ; implicit-def: $vgpr21
	s_waitcnt vmcnt(0) lgkmcnt(0)
	v_lshlrev_b32_e32 v0, 16, v0
	v_lshlrev_b32_e32 v2, 16, v1
	v_pk_mul_f32 v[2:3], v[0:1], v[2:3] op_sel_hi:[0,1]
	v_and_b32_e32 v0, 0x7f800000, v2
	v_cmp_ne_u32_e32 vcc, s64, v0
	s_and_saveexec_b64 s[46:47], vcc
	s_xor_b64 vcc, exec, s[46:47]
; %bb.234:                              ;   in Loop: Header=BB6_233 Depth=2
	v_bfe_u32 v0, v2, 16, 1
	v_add3_u32 v21, v2, v0, s65
                                        ; implicit-def: $vgpr2_vgpr3
; %bb.235:                              ;   in Loop: Header=BB6_233 Depth=2
	s_andn2_saveexec_b64 s[46:47], vcc
; %bb.236:                              ;   in Loop: Header=BB6_233 Depth=2
	v_or_b32_e32 v0, 0x10000, v2
	v_cmp_eq_u32_sdwa vcc, v2, v43 src0_sel:WORD_0 src1_sel:DWORD
	s_nop 1
	v_cndmask_b32_e32 v21, v0, v2, vcc
; %bb.237:                              ;   in Loop: Header=BB6_233 Depth=2
	s_or_b64 exec, exec, s[46:47]
	v_lshlrev_b32_e32 v0, 16, v44
	v_lshlrev_b32_e32 v2, 16, v24
	v_pk_mul_f32 v[2:3], v[0:1], v[2:3] op_sel_hi:[0,1]
	v_and_b32_e32 v0, 0x7f800000, v2
	v_cmp_ne_u32_e32 vcc, s64, v0
                                        ; implicit-def: $vgpr24
	s_and_saveexec_b64 s[46:47], vcc
	s_xor_b64 vcc, exec, s[46:47]
; %bb.238:                              ;   in Loop: Header=BB6_233 Depth=2
	v_bfe_u32 v0, v2, 16, 1
	v_add3_u32 v24, v2, v0, s65
                                        ; implicit-def: $vgpr2_vgpr3
; %bb.239:                              ;   in Loop: Header=BB6_233 Depth=2
	s_andn2_saveexec_b64 s[46:47], vcc
; %bb.240:                              ;   in Loop: Header=BB6_233 Depth=2
	v_or_b32_e32 v0, 0x10000, v2
	v_cmp_eq_u32_sdwa vcc, v2, v43 src0_sel:WORD_0 src1_sel:DWORD
	s_nop 1
	v_cndmask_b32_e32 v24, v0, v2, vcc
; %bb.241:                              ;   in Loop: Header=BB6_233 Depth=2
	s_or_b64 exec, exec, s[46:47]
	v_lshlrev_b32_e32 v0, 16, v42
	v_lshlrev_b32_e32 v2, 16, v27
	v_pk_mul_f32 v[2:3], v[0:1], v[2:3] op_sel_hi:[0,1]
	v_and_b32_e32 v0, 0x7f800000, v2
	v_cmp_ne_u32_e32 vcc, s64, v0
                                        ; implicit-def: $vgpr27
	s_and_saveexec_b64 s[46:47], vcc
	s_xor_b64 vcc, exec, s[46:47]
; %bb.242:                              ;   in Loop: Header=BB6_233 Depth=2
	v_bfe_u32 v0, v2, 16, 1
	v_add3_u32 v27, v2, v0, s65
                                        ; implicit-def: $vgpr2_vgpr3
; %bb.243:                              ;   in Loop: Header=BB6_233 Depth=2
	s_andn2_saveexec_b64 s[46:47], vcc
; %bb.244:                              ;   in Loop: Header=BB6_233 Depth=2
	v_or_b32_e32 v0, 0x10000, v2
	v_cmp_eq_u32_sdwa vcc, v2, v43 src0_sel:WORD_0 src1_sel:DWORD
	s_nop 1
	v_cndmask_b32_e32 v27, v0, v2, vcc
; %bb.245:                              ;   in Loop: Header=BB6_233 Depth=2
	s_or_b64 exec, exec, s[46:47]
	v_lshlrev_b32_e32 v0, 16, v55
	v_lshlrev_b32_e32 v2, 16, v33
	v_pk_mul_f32 v[2:3], v[0:1], v[2:3] op_sel_hi:[0,1]
	v_and_b32_e32 v0, 0x7f800000, v2
	v_cmp_ne_u32_e32 vcc, s64, v0
                                        ; implicit-def: $vgpr33
	s_and_saveexec_b64 s[46:47], vcc
	s_xor_b64 vcc, exec, s[46:47]
; %bb.246:                              ;   in Loop: Header=BB6_233 Depth=2
	v_bfe_u32 v0, v2, 16, 1
	v_add3_u32 v33, v2, v0, s65
                                        ; implicit-def: $vgpr2_vgpr3
; %bb.247:                              ;   in Loop: Header=BB6_233 Depth=2
	s_andn2_saveexec_b64 s[46:47], vcc
; %bb.248:                              ;   in Loop: Header=BB6_233 Depth=2
	v_or_b32_e32 v0, 0x10000, v2
	v_cmp_eq_u32_sdwa vcc, v2, v43 src0_sel:WORD_0 src1_sel:DWORD
	s_nop 1
	v_cndmask_b32_e32 v33, v0, v2, vcc
; %bb.249:                              ;   in Loop: Header=BB6_233 Depth=2
	s_or_b64 exec, exec, s[46:47]
	v_lshlrev_b32_e32 v0, 16, v54
	v_lshlrev_b32_e32 v2, 16, v53
	v_pk_mul_f32 v[2:3], v[0:1], v[2:3] op_sel_hi:[0,1]
	v_and_b32_e32 v0, 0x7f800000, v2
	v_cmp_ne_u32_e32 vcc, s64, v0
                                        ; implicit-def: $vgpr53
	s_and_saveexec_b64 s[46:47], vcc
	s_xor_b64 vcc, exec, s[46:47]
; %bb.250:                              ;   in Loop: Header=BB6_233 Depth=2
	v_bfe_u32 v0, v2, 16, 1
	v_add3_u32 v53, v2, v0, s65
                                        ; implicit-def: $vgpr2_vgpr3
; %bb.251:                              ;   in Loop: Header=BB6_233 Depth=2
	s_andn2_saveexec_b64 s[46:47], vcc
; %bb.252:                              ;   in Loop: Header=BB6_233 Depth=2
	v_or_b32_e32 v0, 0x10000, v2
	v_cmp_eq_u32_sdwa vcc, v2, v43 src0_sel:WORD_0 src1_sel:DWORD
	s_nop 1
	v_cndmask_b32_e32 v53, v0, v2, vcc
; %bb.253:                              ;   in Loop: Header=BB6_233 Depth=2
	s_or_b64 exec, exec, s[46:47]
	v_lshlrev_b32_e32 v0, 16, v52
	v_lshlrev_b32_e32 v2, 16, v32
	v_pk_mul_f32 v[2:3], v[0:1], v[2:3] op_sel_hi:[0,1]
	v_and_b32_e32 v0, 0x7f800000, v2
	v_cmp_ne_u32_e32 vcc, s64, v0
                                        ; implicit-def: $vgpr32
	s_and_saveexec_b64 s[46:47], vcc
	s_xor_b64 vcc, exec, s[46:47]
; %bb.254:                              ;   in Loop: Header=BB6_233 Depth=2
	v_bfe_u32 v0, v2, 16, 1
	v_add3_u32 v32, v2, v0, s65
                                        ; implicit-def: $vgpr2_vgpr3
; %bb.255:                              ;   in Loop: Header=BB6_233 Depth=2
	s_andn2_saveexec_b64 s[46:47], vcc
; %bb.256:                              ;   in Loop: Header=BB6_233 Depth=2
	v_or_b32_e32 v0, 0x10000, v2
	v_cmp_eq_u32_sdwa vcc, v2, v43 src0_sel:WORD_0 src1_sel:DWORD
	s_nop 1
	v_cndmask_b32_e32 v32, v0, v2, vcc
; %bb.257:                              ;   in Loop: Header=BB6_233 Depth=2
	s_or_b64 exec, exec, s[46:47]
	v_lshlrev_b32_e32 v0, 16, v26
	v_lshlrev_b32_e32 v2, 16, v25
	v_pk_mul_f32 v[2:3], v[0:1], v[2:3] op_sel_hi:[0,1]
	v_and_b32_e32 v0, 0x7f800000, v2
	v_cmp_ne_u32_e32 vcc, s64, v0
                                        ; implicit-def: $vgpr25
	s_and_saveexec_b64 s[46:47], vcc
	s_xor_b64 vcc, exec, s[46:47]
; %bb.258:                              ;   in Loop: Header=BB6_233 Depth=2
	v_bfe_u32 v0, v2, 16, 1
	v_add3_u32 v25, v2, v0, s65
                                        ; implicit-def: $vgpr2_vgpr3
; %bb.259:                              ;   in Loop: Header=BB6_233 Depth=2
	s_andn2_saveexec_b64 s[46:47], vcc
; %bb.260:                              ;   in Loop: Header=BB6_233 Depth=2
	v_or_b32_e32 v0, 0x10000, v2
	v_cmp_eq_u32_sdwa vcc, v2, v43 src0_sel:WORD_0 src1_sel:DWORD
	s_nop 1
	v_cndmask_b32_e32 v25, v0, v2, vcc
; %bb.261:                              ;   in Loop: Header=BB6_233 Depth=2
	s_or_b64 exec, exec, s[46:47]
	v_lshlrev_b32_e32 v0, 16, v23
	v_lshlrev_b32_e32 v2, 16, v22
	v_pk_mul_f32 v[2:3], v[0:1], v[2:3] op_sel_hi:[0,1]
	v_and_b32_e32 v0, 0x7f800000, v2
	v_cmp_ne_u32_e32 vcc, s64, v0
                                        ; implicit-def: $vgpr22
	s_and_saveexec_b64 s[46:47], vcc
	s_xor_b64 vcc, exec, s[46:47]
; %bb.262:                              ;   in Loop: Header=BB6_233 Depth=2
	v_bfe_u32 v0, v2, 16, 1
	v_add3_u32 v22, v2, v0, s65
                                        ; implicit-def: $vgpr2_vgpr3
; %bb.263:                              ;   in Loop: Header=BB6_233 Depth=2
	s_andn2_saveexec_b64 s[46:47], vcc
	s_cbranch_execz .LBB6_232
; %bb.264:                              ;   in Loop: Header=BB6_233 Depth=2
	v_or_b32_e32 v0, 0x10000, v2
	v_cmp_eq_u32_sdwa vcc, v2, v43 src0_sel:WORD_0 src1_sel:DWORD
	s_nop 1
	v_cndmask_b32_e32 v22, v0, v2, vcc
	s_branch .LBB6_232
.LBB6_265:                              ;   in Loop: Header=BB6_49 Depth=1
	s_or_b64 exec, exec, s[44:45]
	v_accvgpr_read_b32 v55, a12
	v_accvgpr_read_b32 v44, a13
.LBB6_266:                              ;   in Loop: Header=BB6_49 Depth=1
	s_or_b64 exec, exec, s[42:43]
	v_lshlrev_b32_e32 v2, 10, v20
	v_cmp_ne_u32_e32 vcc, v49, v2
	s_and_b64 exec, exec, vcc
	s_cbranch_execz .LBB6_274
; %bb.267:                              ;   in Loop: Header=BB6_49 Depth=1
	v_add_u32_e32 v0, v17, v19
	v_and_b32_e32 v0, 0xffffffc0, v0
	v_sub_u32_e32 v0, v17, v0
	v_lshlrev_b32_e32 v1, 6, v18
	v_sub_u32_e32 v0, v0, v1
	v_ashrrev_i32_e32 v1, 31, v0
	v_lshrrev_b32_e32 v1, 26, v1
	v_add_u32_e32 v1, v0, v1
	v_and_b32_e32 v3, 0x7fffffc0, v1
	v_sub_u32_e32 v0, v0, v3
	v_lshlrev_b32_e32 v1, 1, v1
	v_and_b32_e32 v1, 0xffffff80, v1
	v_lshlrev_b32_e32 v0, 1, v0
	v_add3_u32 v2, v1, v0, v2
	v_sub_u32_e32 v17, v49, v2
	v_cmp_lt_i32_e32 vcc, 1, v17
	s_and_b64 exec, exec, vcc
	s_cbranch_execz .LBB6_274
; %bb.268:                              ;   in Loop: Header=BB6_49 Depth=1
	s_trap 2
	ds_read_b128 v[10:13], v0
	ds_read_b64 v[0:1], v0
	v_add_u32_e32 v2, v2, v16
	v_ashrrev_i32_e32 v3, 31, v2
	s_mov_b64 s[42:43], 0
	s_waitcnt lgkmcnt(0)
	v_lshl_add_u64 v[10:11], v[10:11], 0, v[2:3]
	v_lshl_add_u64 v[12:13], v[12:13], 0, v[2:3]
	;; [unrolled: 1-line block ×3, first 2 shown]
	s_branch .LBB6_270
.LBB6_269:                              ;   in Loop: Header=BB6_270 Depth=2
	s_or_b64 exec, exec, s[44:45]
	v_accvgpr_read_b32 v0, a18
	v_sub_u32_e32 v17, v17, v0
	v_cmp_gt_i32_e32 vcc, 2, v17
	flat_store_short_d16_hi v[14:15], v16 nt
	v_lshl_add_u64 v[10:11], v[10:11], 0, v[58:59]
	v_lshl_add_u64 v[12:13], v[12:13], 0, v[58:59]
	s_or_b64 s[42:43], vcc, s[42:43]
	v_lshl_add_u64 v[14:15], v[14:15], 0, v[58:59]
	s_andn2_b64 exec, exec, s[42:43]
	s_cbranch_execz .LBB6_274
.LBB6_270:                              ;   Parent Loop BB6_49 Depth=1
                                        ; =>  This Inner Loop Header: Depth=2
	flat_load_ushort v0, v[12:13] nt
	flat_load_ushort v1, v[10:11] nt
                                        ; implicit-def: $vgpr16
	s_waitcnt vmcnt(0) lgkmcnt(0)
	v_lshlrev_b32_e32 v0, 16, v0
	v_lshlrev_b32_e32 v2, 16, v1
	v_pk_mul_f32 v[2:3], v[0:1], v[2:3] op_sel_hi:[0,1]
	v_and_b32_e32 v0, 0x7f800000, v2
	v_cmp_ne_u32_e32 vcc, s64, v0
	s_and_saveexec_b64 s[44:45], vcc
	s_xor_b64 vcc, exec, s[44:45]
; %bb.271:                              ;   in Loop: Header=BB6_270 Depth=2
	v_bfe_u32 v0, v2, 16, 1
	v_add3_u32 v16, v2, v0, s65
                                        ; implicit-def: $vgpr2_vgpr3
; %bb.272:                              ;   in Loop: Header=BB6_270 Depth=2
	s_andn2_saveexec_b64 s[44:45], vcc
	s_cbranch_execz .LBB6_269
; %bb.273:                              ;   in Loop: Header=BB6_270 Depth=2
	v_or_b32_e32 v0, 0x10000, v2
	v_cmp_eq_u32_sdwa vcc, v2, v43 src0_sel:WORD_0 src1_sel:DWORD
	s_nop 1
	v_cndmask_b32_e32 v16, v0, v2, vcc
	s_branch .LBB6_269
.LBB6_274:                              ;   in Loop: Header=BB6_49 Depth=1
	s_or_b64 exec, exec, s[18:19]
	v_cmp_ne_u32_e64 s[18:19], 0, v29
.LBB6_275:                              ;   in Loop: Header=BB6_49 Depth=1
	s_and_saveexec_b64 s[42:43], s[6:7]
	s_cbranch_execz .LBB6_294
; %bb.276:                              ;   in Loop: Header=BB6_49 Depth=1
	s_and_saveexec_b64 vcc, s[28:29]
	s_xor_b64 s[44:45], exec, vcc
	s_cbranch_execz .LBB6_291
; %bb.277:                              ;   in Loop: Header=BB6_49 Depth=1
	s_and_saveexec_b64 s[46:47], s[10:11]
	s_cbranch_execz .LBB6_290
; %bb.278:                              ;   in Loop: Header=BB6_49 Depth=1
	s_mov_b64 s[50:51], exec
	v_mbcnt_lo_u32_b32 v0, s50, 0
	v_mbcnt_hi_u32_b32 v0, s51, v0
	v_cmp_eq_u32_e32 vcc, 0, v0
	s_waitcnt lgkmcnt(0)
	s_and_saveexec_b64 s[48:49], vcc
	s_cbranch_execz .LBB6_280
; %bb.279:                              ;   in Loop: Header=BB6_49 Depth=1
	s_bcnt1_i32_b64 vcc_lo, s[50:51]
	v_mov_b32_e32 v42, vcc_lo
	ds_add_u64 v0, v[42:43]
	s_trap 2
.LBB6_280:                              ;   in Loop: Header=BB6_49 Depth=1
	s_or_b64 exec, exec, s[48:49]
	s_trap 2
	ds_read_b64 v[0:1], v0
	v_accvgpr_read_b32 v2, a6
	v_accvgpr_read_b32 v3, a7
	v_lshl_add_u64 v[2:3], v[2:3], 0, v[40:41]
	v_accvgpr_write_b32 a7, v3
	v_accvgpr_write_b32 a6, v2
	s_waitcnt lgkmcnt(0)
	v_cmp_lt_u64_e32 vcc, v[0:1], v[2:3]
	s_and_saveexec_b64 s[48:49], vcc
	s_cbranch_execz .LBB6_289
; %bb.281:                              ;   in Loop: Header=BB6_49 Depth=1
	s_mov_b32 s67, 0
	s_mov_b64 s[50:51], 0
                                        ; implicit-def: $sgpr52_sgpr53
                                        ; implicit-def: $sgpr54_sgpr55
	s_branch .LBB6_283
.LBB6_282:                              ;   in Loop: Header=BB6_283 Depth=2
	s_or_b64 exec, exec, s[58:59]
	s_and_b64 vcc, exec, vcc
	s_or_b64 s[50:51], vcc, s[50:51]
	s_andn2_b64 vcc, s[52:53], exec
	s_and_b64 s[52:53], s[54:55], exec
	s_or_b64 s[52:53], vcc, s[52:53]
	s_andn2_b64 exec, exec, s[50:51]
	s_cbranch_execz .LBB6_287
.LBB6_283:                              ;   Parent Loop BB6_49 Depth=1
                                        ; =>  This Inner Loop Header: Depth=2
	s_add_i32 s67, s67, 1
	s_cmpk_lg_i32 s67, 0x2710
	s_cselect_b64 s[56:57], -1, 0
	s_and_b64 vcc, exec, s[56:57]
                                        ; implicit-def: $sgpr58_sgpr59
	s_cbranch_vccnz .LBB6_285
; %bb.284:                              ;   in Loop: Header=BB6_283 Depth=2
	s_trap 2
	ds_read_b64 v[0:1], v0
	s_andn2_b64 s[56:57], s[56:57], exec
	s_mov_b32 s67, 0
	s_mov_b64 s[58:59], -1
	s_waitcnt vmcnt(0) lgkmcnt(0)
	flat_load_dword v0, v[0:1] sc0 sc1
	s_waitcnt vmcnt(0) lgkmcnt(0)
	buffer_inv sc0 sc1
	v_cmp_eq_u32_e32 vcc, 0, v0
	s_and_b64 vcc, vcc, exec
	s_or_b64 s[56:57], s[56:57], vcc
.LBB6_285:                              ;   in Loop: Header=BB6_283 Depth=2
	s_andn2_b64 s[54:55], s[54:55], exec
	s_and_b64 s[58:59], s[58:59], exec
	s_mov_b64 vcc, -1
	s_or_b64 s[54:55], s[54:55], s[58:59]
	s_and_saveexec_b64 s[58:59], s[56:57]
	s_cbranch_execz .LBB6_282
; %bb.286:                              ;   in Loop: Header=BB6_283 Depth=2
	s_sleep 1
	s_trap 2
	ds_read_b64 v[0:1], v0
	v_accvgpr_read_b32 v2, a6
	v_accvgpr_read_b32 v3, a7
	s_andn2_b64 s[54:55], s[54:55], exec
	s_waitcnt lgkmcnt(0)
	v_cmp_ge_u64_e32 vcc, v[0:1], v[2:3]
	s_orn2_b64 vcc, vcc, exec
	s_branch .LBB6_282
.LBB6_287:                              ;   in Loop: Header=BB6_49 Depth=1
	s_or_b64 exec, exec, s[50:51]
	s_and_saveexec_b64 vcc, s[52:53]
	s_xor_b64 vcc, exec, vcc
	s_cbranch_execz .LBB6_289
; %bb.288:                              ;   in Loop: Header=BB6_49 Depth=1
	v_mov_b32_e32 v0, 1
	ds_write_b32 v0, v0
	s_trap 2
.LBB6_289:                              ;   in Loop: Header=BB6_49 Depth=1
	s_or_b64 exec, exec, s[48:49]
	;;#ASMSTART
	s_wakeup
	;;#ASMEND
.LBB6_290:                              ;   in Loop: Header=BB6_49 Depth=1
	s_or_b64 exec, exec, s[46:47]
.LBB6_291:                              ;   in Loop: Header=BB6_49 Depth=1
	s_andn2_saveexec_b64 vcc, s[44:45]
	s_cbranch_execz .LBB6_293
; %bb.292:                              ;   in Loop: Header=BB6_49 Depth=1
	s_waitcnt lgkmcnt(0)
	s_barrier
.LBB6_293:                              ;   in Loop: Header=BB6_49 Depth=1
	s_or_b64 exec, exec, vcc
.LBB6_294:                              ;   in Loop: Header=BB6_49 Depth=1
	s_or_b64 exec, exec, s[42:43]
	v_and_b32_e32 v2, 16, v62
	v_cmp_ne_u32_e32 vcc, 0, v2
	s_and_b64 vcc, vcc, s[18:19]
	s_and_saveexec_b64 s[18:19], vcc
	s_cbranch_execz .LBB6_296
; %bb.295:                              ;   in Loop: Header=BB6_49 Depth=1
	buffer_wbl2 sc1
	s_waitcnt vmcnt(0) lgkmcnt(0)
	buffer_inv sc1
.LBB6_296:                              ;   in Loop: Header=BB6_49 Depth=1
	s_or_b64 exec, exec, s[18:19]
	v_cmp_ne_u32_e32 vcc, 0, v2
	s_xor_b64 s[18:19], s[16:17], -1
	s_and_b64 vcc, vcc, s[18:19]
	s_and_saveexec_b64 s[18:19], vcc
	s_cbranch_execz .LBB6_298
; %bb.297:                              ;   in Loop: Header=BB6_49 Depth=1
	v_accvgpr_read_b32 v0, a14
	v_accvgpr_read_b32 v1, a15
	v_mov_b32_e32 v2, 1
	flat_store_dword v[0:1], v2 sc0 sc1
.LBB6_298:                              ;   in Loop: Header=BB6_49 Depth=1
	s_or_b64 exec, exec, s[18:19]
	v_and_b32_e32 v0, 48, v62
	v_cmp_ne_u32_e32 vcc, 0, v0
	s_and_saveexec_b64 s[18:19], vcc
	s_cbranch_execz .LBB6_300
; %bb.299:                              ;   in Loop: Header=BB6_49 Depth=1
	v_lshl_add_u64 v[8:9], v[8:9], 0, 1
	flat_store_dwordx2 v[34:35], v[8:9] sc0 sc1
.LBB6_300:                              ;   in Loop: Header=BB6_49 Depth=1
	s_or_b64 exec, exec, s[18:19]
	v_mov_b32_e32 v2, v48
.LBB6_301:                              ;   in Loop: Header=BB6_49 Depth=1
	s_or_b64 exec, exec, s[40:41]
	s_and_saveexec_b64 s[40:41], s[38:39]
	s_cbranch_execz .LBB6_48
; %bb.302:                              ;   in Loop: Header=BB6_49 Depth=1
	v_and_b32_e32 v0, 12, v62
	v_cmp_ne_u32_e32 vcc, 0, v0
	s_mov_b64 s[38:39], -1
	v_lshl_add_u64 v[12:13], v[8:9], 0, 1
	s_and_saveexec_b64 s[18:19], vcc
	s_cbranch_execz .LBB6_314
; %bb.303:                              ;   in Loop: Header=BB6_49 Depth=1
	v_and_b32_e32 v42, 8, v62
	v_lshl_add_u64 v[0:1], v[38:39], 0, v[42:43]
	v_lshl_add_u64 v[10:11], v[8:9], 0, 1
	v_cmp_lt_u64_e32 vcc, v[0:1], v[10:11]
	v_mov_b32_e32 v3, 1
	s_and_saveexec_b64 s[38:39], vcc
	s_cbranch_execz .LBB6_313
; %bb.304:                              ;   in Loop: Header=BB6_49 Depth=1
	s_mov_b64 s[42:43], 0
	v_mov_b32_e32 v3, 0
                                        ; implicit-def: $sgpr44_sgpr45
	s_branch .LBB6_308
.LBB6_305:                              ;   in Loop: Header=BB6_308 Depth=2
	s_or_b64 exec, exec, s[52:53]
	v_mov_b32_e32 v14, 0
	s_orn2_b64 s[50:51], s[50:51], exec
.LBB6_306:                              ;   in Loop: Header=BB6_308 Depth=2
	s_or_b64 exec, exec, s[48:49]
	s_andn2_b64 vcc, s[44:45], exec
	s_and_b64 s[44:45], s[50:51], exec
	s_or_b64 s[44:45], vcc, s[44:45]
	v_mov_b32_e32 v3, v14
.LBB6_307:                              ;   in Loop: Header=BB6_308 Depth=2
	s_or_b64 exec, exec, s[46:47]
	s_waitcnt vmcnt(0) lgkmcnt(0)
	v_lshl_add_u64 v[0:1], v[38:39], 0, v[42:43]
	v_cmp_ge_u64_e32 vcc, v[0:1], v[10:11]
	s_xor_b64 s[46:47], s[44:45], -1
	s_or_b64 vcc, s[46:47], vcc
	s_and_b64 vcc, exec, vcc
	s_or_b64 s[42:43], vcc, s[42:43]
	s_andn2_b64 exec, exec, s[42:43]
	s_cbranch_execz .LBB6_312
.LBB6_308:                              ;   Parent Loop BB6_49 Depth=1
                                        ; =>  This Inner Loop Header: Depth=2
	s_sleep 1
	flat_load_dwordx2 v[38:39], v[34:35] sc0 sc1
	v_and_b32_e32 v0, 64, v62
	v_cmp_eq_u32_e32 vcc, 0, v0
	s_andn2_b64 s[44:45], s[44:45], exec
	s_and_saveexec_b64 s[46:47], vcc
	s_cbranch_execz .LBB6_307
; %bb.309:                              ;   in Loop: Header=BB6_308 Depth=2
	v_add_u32_e32 v14, 1, v3
	v_cmp_lt_i32_e32 vcc, s62, v3
	s_mov_b64 s[50:51], -1
	s_and_saveexec_b64 s[48:49], vcc
	s_cbranch_execz .LBB6_306
; %bb.310:                              ;   in Loop: Header=BB6_308 Depth=2
	s_trap 2
	ds_read_b64 v[0:1], v0
	s_waitcnt vmcnt(0) lgkmcnt(0)
	flat_load_dword v3, v[0:1] sc0 sc1
	s_waitcnt vmcnt(0) lgkmcnt(0)
	buffer_inv sc0 sc1
	v_cmp_ne_u32_e32 vcc, 0, v3
	s_and_saveexec_b64 s[52:53], vcc
	s_cbranch_execz .LBB6_305
; %bb.311:                              ;   in Loop: Header=BB6_308 Depth=2
	v_or_b32_e32 v62, 64, v62
	s_xor_b64 s[50:51], exec, -1
	ds_write_b32 v0, v3
	s_trap 2
	s_branch .LBB6_305
.LBB6_312:                              ;   in Loop: Header=BB6_49 Depth=1
	s_or_b64 exec, exec, s[42:43]
	v_and_b32_e32 v3, 12, v62
.LBB6_313:                              ;   in Loop: Header=BB6_49 Depth=1
	s_or_b64 exec, exec, s[38:39]
	v_cmp_eq_u32_e32 vcc, 0, v3
	s_orn2_b64 s[38:39], vcc, exec
	;;#ASMSTART
	s_wakeup
	;;#ASMEND
.LBB6_314:                              ;   in Loop: Header=BB6_49 Depth=1
	s_or_b64 exec, exec, s[18:19]
	v_sub_u32_e32 v0, v28, v2
	s_xor_b64 s[18:19], s[38:39], -1
	v_min_i32_e32 v10, v48, v0
	s_and_saveexec_b64 s[38:39], s[18:19]
	s_cbranch_execz .LBB6_326
; %bb.315:                              ;   in Loop: Header=BB6_49 Depth=1
	v_and_b32_e32 v0, 0x108, v62
	v_cmp_ne_u32_e32 vcc, s63, v0
	v_and_b32_e32 v8, 7, v8
	s_and_saveexec_b64 s[18:19], vcc
	s_xor_b64 s[18:19], exec, s[18:19]
	s_andn2_saveexec_b64 s[18:19], s[18:19]
	s_cbranch_execz .LBB6_317
; %bb.316:                              ;   in Loop: Header=BB6_49 Depth=1
	v_ashrrev_i32_e32 v11, 31, v10
	v_mad_u64_u32 v[0:1], vcc, v8, 24, v[6:7]
	v_lshlrev_b64 v[2:3], 1, v[10:11]
	flat_store_dwordx2 v[0:1], v[2:3] offset:8
.LBB6_317:                              ;   in Loop: Header=BB6_49 Depth=1
	s_or_b64 exec, exec, s[18:19]
	v_and_b32_e32 v0, 0x100, v62
	v_cmp_ne_u32_e32 vcc, 0, v0
	s_mov_b64 s[18:19], -1
                                        ; implicit-def: $vgpr14_vgpr15
	s_and_saveexec_b64 s[42:43], vcc
	s_cbranch_execz .LBB6_321
; %bb.318:                              ;   in Loop: Header=BB6_49 Depth=1
	v_mad_u64_u32 v[2:3], s[18:19], v8, 24, v[6:7]
	v_mov_b32_e32 v0, v3
	v_mad_u64_u32 v[0:1], s[18:19], v43, 24, v[0:1]
	v_mov_b32_e32 v3, v0
	flat_load_dword v0, v[2:3]
                                        ; implicit-def: $vgpr14_vgpr15
	s_waitcnt vmcnt(0) lgkmcnt(0)
	v_cmp_ne_u32_e32 vcc, 1, v0
	v_cmp_eq_u32_e64 s[18:19], 1, v0
	s_and_saveexec_b64 s[44:45], s[18:19]
	s_cbranch_execz .LBB6_320
; %bb.319:                              ;   in Loop: Header=BB6_49 Depth=1
	flat_load_dword v0, v[2:3] offset:4 sc0 sc1
	s_waitcnt vmcnt(0) lgkmcnt(0)
	v_ashrrev_i32_e32 v1, 31, v0
	v_lshrrev_b64 v[14:15], 1, v[0:1]
.LBB6_320:                              ;   in Loop: Header=BB6_49 Depth=1
	s_or_b64 exec, exec, s[44:45]
	s_orn2_b64 s[18:19], vcc, exec
.LBB6_321:                              ;   in Loop: Header=BB6_49 Depth=1
	s_or_b64 exec, exec, s[42:43]
	s_and_saveexec_b64 vcc, s[18:19]
; %bb.322:                              ;   in Loop: Header=BB6_49 Depth=1
	v_accvgpr_read_b32 v2, a8
	v_accvgpr_read_b32 v1, a9
	v_mul_lo_u32 v0, v43, v2
	v_mul_lo_u32 v1, v8, v1
	v_mad_u64_u32 v[14:15], s[18:19], v8, v2, 0
	v_add3_u32 v15, v15, v1, v0
; %bb.323:                              ;   in Loop: Header=BB6_49 Depth=1
	s_or_b64 exec, exec, vcc
	v_accvgpr_read_b32 v0, a10
	v_accvgpr_read_b32 v1, a11
	v_lshl_add_u64 v[0:1], v[14:15], 1, v[0:1]
	s_trap 2
	ds_write_b64 v0, v[0:1]
	v_and_b32_e32 v0, 0x2000, v62
	v_cmp_ne_u32_e32 vcc, 0, v0
	s_and_saveexec_b64 s[18:19], vcc
	s_cbranch_execz .LBB6_325
; %bb.324:                              ;   in Loop: Header=BB6_49 Depth=1
	ds_read_b64 v[0:1], v0 offset:584
	s_waitcnt lgkmcnt(0)
	v_lshl_add_u64 v[0:1], v[0:1], 0, 1
	ds_write_b64 v0, v[0:1] offset:584
.LBB6_325:                              ;   in Loop: Header=BB6_49 Depth=1
	s_or_b64 exec, exec, s[18:19]
	v_mov_b64_e32 v[8:9], v[12:13]
.LBB6_326:                              ;   in Loop: Header=BB6_49 Depth=1
	s_or_b64 exec, exec, s[38:39]
	s_and_saveexec_b64 s[18:19], s[6:7]
	s_cbranch_execz .LBB6_345
; %bb.327:                              ;   in Loop: Header=BB6_49 Depth=1
	s_and_saveexec_b64 vcc, s[28:29]
	s_xor_b64 s[38:39], exec, vcc
	s_cbranch_execz .LBB6_342
; %bb.328:                              ;   in Loop: Header=BB6_49 Depth=1
	s_and_saveexec_b64 s[42:43], s[10:11]
	s_cbranch_execz .LBB6_341
; %bb.329:                              ;   in Loop: Header=BB6_49 Depth=1
	s_mov_b64 s[46:47], exec
	v_mbcnt_lo_u32_b32 v0, s46, 0
	v_mbcnt_hi_u32_b32 v0, s47, v0
	v_cmp_eq_u32_e32 vcc, 0, v0
	s_waitcnt lgkmcnt(0)
	s_and_saveexec_b64 s[44:45], vcc
	s_cbranch_execz .LBB6_331
; %bb.330:                              ;   in Loop: Header=BB6_49 Depth=1
	s_bcnt1_i32_b64 vcc_lo, s[46:47]
	v_mov_b32_e32 v42, vcc_lo
	ds_add_u64 v0, v[42:43]
	s_trap 2
.LBB6_331:                              ;   in Loop: Header=BB6_49 Depth=1
	s_or_b64 exec, exec, s[44:45]
	s_trap 2
	ds_read_b64 v[0:1], v0
	v_accvgpr_read_b32 v2, a6
	v_accvgpr_read_b32 v3, a7
	v_lshl_add_u64 v[2:3], v[2:3], 0, v[40:41]
	v_accvgpr_write_b32 a7, v3
	v_accvgpr_write_b32 a6, v2
	s_waitcnt lgkmcnt(0)
	v_cmp_lt_u64_e32 vcc, v[0:1], v[2:3]
	s_and_saveexec_b64 s[44:45], vcc
	s_cbranch_execz .LBB6_340
; %bb.332:                              ;   in Loop: Header=BB6_49 Depth=1
	s_mov_b32 s56, 0
	s_mov_b64 s[46:47], 0
                                        ; implicit-def: $sgpr48_sgpr49
                                        ; implicit-def: $sgpr50_sgpr51
	s_branch .LBB6_334
.LBB6_333:                              ;   in Loop: Header=BB6_334 Depth=2
	s_or_b64 exec, exec, s[54:55]
	s_and_b64 vcc, exec, vcc
	s_or_b64 s[46:47], vcc, s[46:47]
	s_andn2_b64 vcc, s[48:49], exec
	s_and_b64 s[48:49], s[50:51], exec
	s_or_b64 s[48:49], vcc, s[48:49]
	s_andn2_b64 exec, exec, s[46:47]
	s_cbranch_execz .LBB6_338
.LBB6_334:                              ;   Parent Loop BB6_49 Depth=1
                                        ; =>  This Inner Loop Header: Depth=2
	s_add_i32 s56, s56, 1
	s_cmpk_lg_i32 s56, 0x2710
	s_cselect_b64 s[52:53], -1, 0
	s_and_b64 vcc, exec, s[52:53]
                                        ; implicit-def: $sgpr54_sgpr55
	s_cbranch_vccnz .LBB6_336
; %bb.335:                              ;   in Loop: Header=BB6_334 Depth=2
	s_trap 2
	ds_read_b64 v[0:1], v0
	s_andn2_b64 s[52:53], s[52:53], exec
	s_mov_b32 s56, 0
	s_mov_b64 s[54:55], -1
	s_waitcnt vmcnt(0) lgkmcnt(0)
	flat_load_dword v0, v[0:1] sc0 sc1
	s_waitcnt vmcnt(0) lgkmcnt(0)
	buffer_inv sc0 sc1
	v_cmp_eq_u32_e32 vcc, 0, v0
	s_and_b64 vcc, vcc, exec
	s_or_b64 s[52:53], s[52:53], vcc
.LBB6_336:                              ;   in Loop: Header=BB6_334 Depth=2
	s_andn2_b64 s[50:51], s[50:51], exec
	s_and_b64 s[54:55], s[54:55], exec
	s_mov_b64 vcc, -1
	s_or_b64 s[50:51], s[50:51], s[54:55]
	s_and_saveexec_b64 s[54:55], s[52:53]
	s_cbranch_execz .LBB6_333
; %bb.337:                              ;   in Loop: Header=BB6_334 Depth=2
	s_sleep 1
	s_trap 2
	ds_read_b64 v[0:1], v0
	v_accvgpr_read_b32 v2, a6
	v_accvgpr_read_b32 v3, a7
	s_andn2_b64 s[50:51], s[50:51], exec
	s_waitcnt lgkmcnt(0)
	v_cmp_ge_u64_e32 vcc, v[0:1], v[2:3]
	s_orn2_b64 vcc, vcc, exec
	s_branch .LBB6_333
.LBB6_338:                              ;   in Loop: Header=BB6_49 Depth=1
	s_or_b64 exec, exec, s[46:47]
	s_and_saveexec_b64 vcc, s[48:49]
	s_xor_b64 vcc, exec, vcc
	s_cbranch_execz .LBB6_340
; %bb.339:                              ;   in Loop: Header=BB6_49 Depth=1
	v_mov_b32_e32 v0, 1
	ds_write_b32 v0, v0
	s_trap 2
.LBB6_340:                              ;   in Loop: Header=BB6_49 Depth=1
	s_or_b64 exec, exec, s[44:45]
	;;#ASMSTART
	s_wakeup
	;;#ASMEND
.LBB6_341:                              ;   in Loop: Header=BB6_49 Depth=1
	s_or_b64 exec, exec, s[42:43]
.LBB6_342:                              ;   in Loop: Header=BB6_49 Depth=1
	s_andn2_saveexec_b64 vcc, s[38:39]
	s_cbranch_execz .LBB6_344
; %bb.343:                              ;   in Loop: Header=BB6_49 Depth=1
	s_waitcnt lgkmcnt(0)
	s_barrier
.LBB6_344:                              ;   in Loop: Header=BB6_49 Depth=1
	s_or_b64 exec, exec, vcc
.LBB6_345:                              ;   in Loop: Header=BB6_49 Depth=1
	s_or_b64 exec, exec, s[18:19]
	s_trap 2
	ds_read_b32 v0, v0
	v_cmp_lt_i32_e32 vcc, 0, v10
	v_and_b32_e32 v2, 16, v62
	s_waitcnt lgkmcnt(0)
	v_readfirstlane_b32 s18, v0
	s_cmp_eq_u32 s18, 0
	s_cselect_b64 s[18:19], -1, 0
	s_and_b64 s[18:19], vcc, s[18:19]
	v_cmp_ne_u32_e32 vcc, 0, v2
	s_and_b64 vcc, vcc, s[18:19]
	s_and_saveexec_b64 s[18:19], vcc
	s_cbranch_execz .LBB6_347
; %bb.346:                              ;   in Loop: Header=BB6_49 Depth=1
	buffer_wbl2 sc1
	s_waitcnt vmcnt(0)
	buffer_inv sc1
.LBB6_347:                              ;   in Loop: Header=BB6_49 Depth=1
	s_or_b64 exec, exec, s[18:19]
	v_cmp_ne_u32_e32 vcc, 0, v2
	s_xor_b64 s[18:19], s[16:17], -1
	s_and_b64 vcc, vcc, s[18:19]
	s_and_saveexec_b64 s[18:19], vcc
	s_cbranch_execz .LBB6_349
; %bb.348:                              ;   in Loop: Header=BB6_49 Depth=1
	v_accvgpr_read_b32 v0, a14
	v_accvgpr_read_b32 v1, a15
	v_mov_b32_e32 v2, 1
	flat_store_dword v[0:1], v2 sc0 sc1
.LBB6_349:                              ;   in Loop: Header=BB6_49 Depth=1
	s_or_b64 exec, exec, s[18:19]
	v_and_b32_e32 v0, 48, v62
	v_cmp_ne_u32_e32 vcc, 0, v0
	s_and_saveexec_b64 s[18:19], vcc
	s_cbranch_execz .LBB6_47
; %bb.350:                              ;   in Loop: Header=BB6_49 Depth=1
	v_lshl_add_u64 v[8:9], v[8:9], 0, 1
	flat_store_dwordx2 v[34:35], v[8:9] sc0 sc1
	s_branch .LBB6_47
.LBB6_351:
	s_or_b64 exec, exec, s[30:31]
	v_accvgpr_read_b32 v27, a3
	v_accvgpr_read_b32 v59, a7
	v_mov_b32_e32 v25, v50
	v_mov_b32_e32 v31, v30
	;; [unrolled: 1-line block ×3, first 2 shown]
	v_accvgpr_read_b32 v26, a2
	v_accvgpr_read_b32 v58, a6
.LBB6_352:
	s_or_b64 exec, exec, s[26:27]
                                        ; implicit-def: $vgpr56_vgpr57
                                        ; implicit-def: $vgpr4_vgpr5
                                        ; implicit-def: $agpr8
                                        ; implicit-def: $vgpr38_vgpr39
                                        ; implicit-def: $agpr10_agpr11
                                        ; implicit-def: $vgpr34_vgpr35
                                        ; implicit-def: $vgpr45
                                        ; implicit-def: $vgpr15
                                        ; implicit-def: $vgpr36_vgpr37
.LBB6_353:
	s_andn2_saveexec_b64 s[16:17], s[24:25]
	s_cbranch_execz .LBB6_654
; %bb.354:
	v_mov_b64_e32 v[58:59], 0
	s_and_saveexec_b64 s[18:19], s[2:3]
	s_cbranch_execz .LBB6_653
; %bb.355:
	v_and_b32_e32 v0, 63, v31
	v_cmp_eq_u32_e64 s[6:7], 0, v0
	v_ashrrev_i32_e32 v0, 31, v45
	v_lshrrev_b32_e32 v0, 26, v0
	v_add_u32_e32 v0, v45, v0
	v_ashrrev_i32_e32 v49, 6, v0
	v_and_b32_e32 v0, 0xffffffc0, v0
	v_sub_u32_e32 v1, v45, v0
	v_lshlrev_b32_e32 v0, 11, v49
	v_lshl_add_u32 v0, v1, 4, v0
	v_cmp_le_i32_e64 s[10:11], v1, v15
	v_cmp_gt_i32_e64 s[12:13], 1, v1
	v_accvgpr_write_b32 a9, v1
	v_ashrrev_i32_e32 v1, 31, v0
	s_waitcnt lgkmcnt(0)
	v_accvgpr_write_b32 a15, v1
	v_lshrrev_b32_e32 v52, 6, v25
	v_accvgpr_write_b32 a14, v0
	v_mov_b32_e32 v0, 0xfffff800
	v_lshl_add_u32 v0, v52, 11, v0
	v_ashrrev_i32_e32 v1, 31, v0
	s_mov_b64 s[14:15], 0x800
	v_lshlrev_b32_e32 v50, 10, v52
	s_lshr_b32 s2, s60, 27
	v_lshl_add_u64 v[42:43], v[0:1], 0, s[14:15]
	v_add_u32_e32 v0, 0xfffffc00, v50
	v_accvgpr_write_b32 a2, v56
	s_add_i32 s2, s60, s2
	v_ashrrev_i32_e32 v1, 31, v0
	s_mov_b64 s[14:15], 0x400
	v_lshlrev_b32_e32 v51, 7, v52
	v_accvgpr_write_b32 a3, v57
	s_ashr_i32 s56, s2, 5
	v_cmp_ge_i32_e64 s[2:3], v45, v25
	v_mov_b32_e32 v30, v31
	v_mov_b32_e32 v31, v45
	v_lshl_add_u64 v[44:45], v[0:1], 0, s[14:15]
	v_add_u32_e32 v0, 0xffffff80, v51
	v_mov_b64_e32 v[56:57], 0
	v_accvgpr_write_b32 a6, v26
	v_cmp_eq_u32_e32 vcc, 64, v25
	v_mov_b32_e32 v55, 0
	v_ashrrev_i32_e32 v1, 31, v0
	s_mov_b64 s[14:15], 0x80
	v_accvgpr_write_b32 a12, v56
	v_accvgpr_write_b32 a7, v27
	v_cmp_ne_u32_e64 s[4:5], 64, v25
	v_accvgpr_write_b32 a1, v19
	v_cmp_ne_u32_sdwa s[24:25], v19, v25 src0_sel:WORD_0 src1_sel:DWORD
	v_accvgpr_write_b32 a0, v25
	v_mov_b32_e32 v53, v55
	v_lshl_add_u64 v[0:1], v[0:1], 0, s[14:15]
	s_mov_b64 s[26:27], 0
	s_movk_i32 s57, 0x270e
	s_xor_b64 s[28:29], vcc, -1
	s_mov_b32 s58, 0x7f800000
	s_movk_i32 s59, 0x7fff
	s_mov_b32 s61, 0xffff0000
	s_mov_b64 s[30:31], 0x380
	v_accvgpr_write_b32 a13, v57
	s_trap 2
	s_branch .LBB6_358
.LBB6_356:                              ;   in Loop: Header=BB6_358 Depth=1
	s_or_b64 exec, exec, s[14:15]
.LBB6_357:                              ;   in Loop: Header=BB6_358 Depth=1
	s_or_b64 exec, exec, s[36:37]
	v_lshl_add_u64 v[56:57], v[56:57], 0, v[36:37]
	v_cmp_ge_u64_e32 vcc, v[56:57], v[4:5]
	s_or_b64 s[26:27], vcc, s[26:27]
	s_andn2_b64 exec, exec, s[26:27]
	s_cbranch_execz .LBB6_652
.LBB6_358:                              ; =>This Loop Header: Depth=1
                                        ;     Child Loop BB6_369 Depth 2
                                        ;     Child Loop BB6_391 Depth 2
	;; [unrolled: 1-line block ×10, first 2 shown]
	v_sub_co_u32_e32 v2, vcc, v4, v56
	v_mov_b32_e32 v14, 0
	s_nop 0
	v_subb_co_u32_e32 v3, vcc, v5, v57, vcc
	v_cmp_lt_u64_e32 vcc, v[36:37], v[2:3]
	s_nop 1
	v_cndmask_b32_e64 v59, v3, 0, vcc
	v_cndmask_b32_e32 v58, v2, v36, vcc
	v_add_u32_e32 v2, 15, v58
	v_cmp_eq_u64_e32 vcc, 0, v[58:59]
	v_and_b32_e32 v2, 0x3ffffff0, v2
	s_or_b64 s[34:35], s[2:3], vcc
	v_max_i32_e32 v46, s56, v2
	s_xor_b64 s[14:15], s[34:35], -1
	s_and_saveexec_b64 s[36:37], s[14:15]
	s_cbranch_execz .LBB6_606
; %bb.359:                              ;   in Loop: Header=BB6_358 Depth=1
	s_and_saveexec_b64 s[14:15], s[0:1]
	s_cbranch_execz .LBB6_361
; %bb.360:                              ;   in Loop: Header=BB6_358 Depth=1
	s_trap 2
	ds_read2_b64 v[10:13], v0 offset1:1
	ds_read_b64 v[14:15], v0
	v_accvgpr_read_b32 v2, a2
	v_accvgpr_read_b32 v3, a3
	v_lshl_add_u64 v[2:3], v[56:57], 0, v[2:3]
	v_lshlrev_b64 v[2:3], 1, v[2:3]
	s_waitcnt lgkmcnt(0)
	v_lshl_add_u64 v[10:11], v[10:11], 0, v[2:3]
	ds_write_b64 v0, v[10:11]
	v_lshl_add_u64 v[10:11], v[12:13], 0, v[2:3]
	v_lshl_add_u64 v[2:3], v[14:15], 0, v[2:3]
	v_cmp_ne_u64_e32 vcc, 0, v[14:15]
	ds_write_b64 v0, v[10:11]
	s_nop 0
	v_cndmask_b32_e32 v3, 0, v3, vcc
	v_cndmask_b32_e32 v2, 0, v2, vcc
	ds_write_b64 v0, v[2:3]
.LBB6_361:                              ;   in Loop: Header=BB6_358 Depth=1
	s_or_b64 exec, exec, s[14:15]
	v_and_b32_e32 v2, 4, v62
	v_cmp_ne_u32_e32 vcc, 0, v2
	s_mov_b64 s[38:39], -1
	v_lshl_add_u64 v[10:11], v[8:9], 0, 1
	s_and_saveexec_b64 s[14:15], vcc
	s_cbranch_execnz .LBB6_364
; %bb.362:                              ;   in Loop: Header=BB6_358 Depth=1
	s_or_b64 exec, exec, s[14:15]
	s_xor_b64 s[14:15], s[38:39], -1
	s_and_saveexec_b64 s[38:39], s[14:15]
	s_cbranch_execnz .LBB6_375
.LBB6_363:                              ;   in Loop: Header=BB6_358 Depth=1
	s_or_b64 exec, exec, s[38:39]
	s_and_saveexec_b64 s[14:15], s[4:5]
	s_cbranch_execnz .LBB6_384
	s_branch .LBB6_402
.LBB6_364:                              ;   in Loop: Header=BB6_358 Depth=1
	v_lshl_add_u64 v[12:13], v[8:9], 0, 1
	v_cmp_lt_u64_e32 vcc, v[38:39], v[12:13]
	v_mov_b32_e32 v2, 1
	s_and_saveexec_b64 s[38:39], vcc
	s_cbranch_execz .LBB6_374
; %bb.365:                              ;   in Loop: Header=BB6_358 Depth=1
	s_mov_b64 s[40:41], 0
	v_mov_b32_e32 v2, 0
                                        ; implicit-def: $sgpr42_sgpr43
	s_branch .LBB6_369
.LBB6_366:                              ;   in Loop: Header=BB6_369 Depth=2
	s_or_b64 exec, exec, s[50:51]
	v_mov_b32_e32 v3, 0
	s_orn2_b64 s[48:49], s[48:49], exec
.LBB6_367:                              ;   in Loop: Header=BB6_369 Depth=2
	s_or_b64 exec, exec, s[46:47]
	s_andn2_b64 vcc, s[42:43], exec
	s_and_b64 s[42:43], s[48:49], exec
	s_or_b64 s[42:43], vcc, s[42:43]
	v_mov_b32_e32 v2, v3
.LBB6_368:                              ;   in Loop: Header=BB6_369 Depth=2
	s_or_b64 exec, exec, s[44:45]
	s_waitcnt vmcnt(0) lgkmcnt(0)
	v_cmp_ge_u64_e32 vcc, v[38:39], v[12:13]
	s_xor_b64 s[44:45], s[42:43], -1
	s_or_b64 vcc, s[44:45], vcc
	s_and_b64 vcc, exec, vcc
	s_or_b64 s[40:41], vcc, s[40:41]
	s_andn2_b64 exec, exec, s[40:41]
	s_cbranch_execz .LBB6_373
.LBB6_369:                              ;   Parent Loop BB6_358 Depth=1
                                        ; =>  This Inner Loop Header: Depth=2
	s_sleep 1
	flat_load_dwordx2 v[38:39], v[34:35] sc0 sc1
	v_and_b32_e32 v3, 64, v62
	v_cmp_eq_u32_e32 vcc, 0, v3
	s_andn2_b64 s[42:43], s[42:43], exec
	s_and_saveexec_b64 s[44:45], vcc
	s_cbranch_execz .LBB6_368
; %bb.370:                              ;   in Loop: Header=BB6_369 Depth=2
	v_add_u32_e32 v3, 1, v2
	v_cmp_lt_i32_e32 vcc, s57, v2
	s_mov_b64 s[48:49], -1
	s_and_saveexec_b64 s[46:47], vcc
	s_cbranch_execz .LBB6_367
; %bb.371:                              ;   in Loop: Header=BB6_369 Depth=2
	s_trap 2
	ds_read_b64 v[2:3], v0
	s_waitcnt vmcnt(0) lgkmcnt(0)
	flat_load_dword v2, v[2:3] sc0 sc1
	s_waitcnt vmcnt(0) lgkmcnt(0)
	buffer_inv sc0 sc1
	v_cmp_ne_u32_e32 vcc, 0, v2
	s_and_saveexec_b64 s[50:51], vcc
	s_cbranch_execz .LBB6_366
; %bb.372:                              ;   in Loop: Header=BB6_369 Depth=2
	v_or_b32_e32 v62, 64, v62
	s_xor_b64 s[48:49], exec, -1
	ds_write_b32 v0, v2
	s_trap 2
	s_branch .LBB6_366
.LBB6_373:                              ;   in Loop: Header=BB6_358 Depth=1
	s_or_b64 exec, exec, s[40:41]
	v_and_b32_e32 v2, 4, v62
.LBB6_374:                              ;   in Loop: Header=BB6_358 Depth=1
	s_or_b64 exec, exec, s[38:39]
	v_cmp_eq_u32_e32 vcc, 0, v2
	s_orn2_b64 s[38:39], vcc, exec
	;;#ASMSTART
	s_wakeup
	;;#ASMEND
	s_or_b64 exec, exec, s[14:15]
	s_xor_b64 s[14:15], s[38:39], -1
	s_and_saveexec_b64 s[38:39], s[14:15]
	s_cbranch_execz .LBB6_363
.LBB6_375:                              ;   in Loop: Header=BB6_358 Depth=1
	v_and_b32_e32 v2, 0x100, v62
	v_cmp_ne_u32_e32 vcc, 0, v2
	v_and_b32_e32 v12, 7, v8
	s_mov_b64 s[14:15], -1
                                        ; implicit-def: $vgpr8_vgpr9
	s_and_saveexec_b64 s[40:41], vcc
	s_cbranch_execz .LBB6_379
; %bb.376:                              ;   in Loop: Header=BB6_358 Depth=1
	v_mad_u64_u32 v[2:3], s[14:15], v12, 24, v[6:7]
	flat_load_dword v8, v[2:3]
	s_waitcnt vmcnt(0) lgkmcnt(0)
	v_cmp_ne_u32_e32 vcc, 1, v8
	v_cmp_eq_u32_e64 s[14:15], 1, v8
                                        ; implicit-def: $vgpr8_vgpr9
	s_and_saveexec_b64 s[42:43], s[14:15]
	s_cbranch_execz .LBB6_378
; %bb.377:                              ;   in Loop: Header=BB6_358 Depth=1
	flat_load_dword v2, v[2:3] offset:4 sc0 sc1
	s_waitcnt vmcnt(0) lgkmcnt(0)
	v_ashrrev_i32_e32 v3, 31, v2
	v_lshrrev_b64 v[8:9], 1, v[2:3]
.LBB6_378:                              ;   in Loop: Header=BB6_358 Depth=1
	s_or_b64 exec, exec, s[42:43]
	s_orn2_b64 s[14:15], vcc, exec
.LBB6_379:                              ;   in Loop: Header=BB6_358 Depth=1
	s_or_b64 exec, exec, s[40:41]
	s_and_saveexec_b64 vcc, s[14:15]
; %bb.380:                              ;   in Loop: Header=BB6_358 Depth=1
	v_accvgpr_read_b32 v2, a8
	v_mad_i64_i32 v[8:9], s[14:15], v12, v2, 0
; %bb.381:                              ;   in Loop: Header=BB6_358 Depth=1
	s_or_b64 exec, exec, vcc
	v_accvgpr_read_b32 v2, a10
	v_accvgpr_read_b32 v3, a11
	v_lshl_add_u64 v[2:3], v[8:9], 1, v[2:3]
	ds_write_b64 v0, v[2:3] offset:728
	v_and_b32_e32 v2, 0x2000, v62
	v_cmp_ne_u32_e32 vcc, 0, v2
	s_and_saveexec_b64 s[14:15], vcc
	s_cbranch_execz .LBB6_383
; %bb.382:                              ;   in Loop: Header=BB6_358 Depth=1
	ds_read_b64 v[2:3], v0 offset:584
	s_waitcnt lgkmcnt(0)
	v_lshl_add_u64 v[2:3], v[2:3], 0, 1
	ds_write_b64 v0, v[2:3] offset:584
.LBB6_383:                              ;   in Loop: Header=BB6_358 Depth=1
	s_or_b64 exec, exec, s[14:15]
	v_mov_b64_e32 v[8:9], v[10:11]
	s_or_b64 exec, exec, s[38:39]
	s_and_saveexec_b64 s[14:15], s[4:5]
	s_cbranch_execz .LBB6_402
.LBB6_384:                              ;   in Loop: Header=BB6_358 Depth=1
	s_and_saveexec_b64 vcc, s[24:25]
	s_xor_b64 s[38:39], exec, vcc
	s_cbranch_execz .LBB6_399
; %bb.385:                              ;   in Loop: Header=BB6_358 Depth=1
	s_and_saveexec_b64 s[40:41], s[6:7]
	s_cbranch_execz .LBB6_398
; %bb.386:                              ;   in Loop: Header=BB6_358 Depth=1
	s_mov_b64 s[44:45], exec
	v_mbcnt_lo_u32_b32 v2, s44, 0
	v_mbcnt_hi_u32_b32 v2, s45, v2
	v_cmp_eq_u32_e32 vcc, 0, v2
	s_waitcnt lgkmcnt(0)
	s_and_saveexec_b64 s[42:43], vcc
	s_cbranch_execz .LBB6_388
; %bb.387:                              ;   in Loop: Header=BB6_358 Depth=1
	s_bcnt1_i32_b64 vcc_lo, s[44:45]
	v_mov_b32_e32 v54, vcc_lo
	ds_add_u64 v0, v[54:55]
	s_trap 2
.LBB6_388:                              ;   in Loop: Header=BB6_358 Depth=1
	s_or_b64 exec, exec, s[42:43]
	s_trap 2
	ds_read_b64 v[2:3], v0
	v_accvgpr_read_b32 v10, a12
	v_accvgpr_read_b32 v11, a13
	v_lshl_add_u64 v[10:11], v[10:11], 0, v[52:53]
	v_accvgpr_write_b32 a13, v11
	v_accvgpr_write_b32 a12, v10
	s_waitcnt lgkmcnt(0)
	v_cmp_lt_u64_e32 vcc, v[2:3], v[10:11]
	s_and_saveexec_b64 s[42:43], vcc
	s_cbranch_execz .LBB6_397
; %bb.389:                              ;   in Loop: Header=BB6_358 Depth=1
	s_mov_b32 s54, 0
	s_mov_b64 s[44:45], 0
                                        ; implicit-def: $sgpr46_sgpr47
                                        ; implicit-def: $sgpr48_sgpr49
	s_branch .LBB6_391
.LBB6_390:                              ;   in Loop: Header=BB6_391 Depth=2
	s_or_b64 exec, exec, s[52:53]
	s_and_b64 vcc, exec, vcc
	s_or_b64 s[44:45], vcc, s[44:45]
	s_andn2_b64 vcc, s[46:47], exec
	s_and_b64 s[46:47], s[48:49], exec
	s_or_b64 s[46:47], vcc, s[46:47]
	s_andn2_b64 exec, exec, s[44:45]
	s_cbranch_execz .LBB6_395
.LBB6_391:                              ;   Parent Loop BB6_358 Depth=1
                                        ; =>  This Inner Loop Header: Depth=2
	s_add_i32 s54, s54, 1
	s_cmpk_lg_i32 s54, 0x2710
	s_cselect_b64 s[50:51], -1, 0
	s_and_b64 vcc, exec, s[50:51]
                                        ; implicit-def: $sgpr52_sgpr53
	s_cbranch_vccnz .LBB6_393
; %bb.392:                              ;   in Loop: Header=BB6_391 Depth=2
	s_trap 2
	ds_read_b64 v[2:3], v0
	s_andn2_b64 s[50:51], s[50:51], exec
	s_mov_b32 s54, 0
	s_mov_b64 s[52:53], -1
	s_waitcnt vmcnt(0) lgkmcnt(0)
	flat_load_dword v2, v[2:3] sc0 sc1
	s_waitcnt vmcnt(0) lgkmcnt(0)
	buffer_inv sc0 sc1
	v_cmp_eq_u32_e32 vcc, 0, v2
	s_and_b64 vcc, vcc, exec
	s_or_b64 s[50:51], s[50:51], vcc
.LBB6_393:                              ;   in Loop: Header=BB6_391 Depth=2
	s_andn2_b64 s[48:49], s[48:49], exec
	s_and_b64 s[52:53], s[52:53], exec
	s_mov_b64 vcc, -1
	s_or_b64 s[48:49], s[48:49], s[52:53]
	s_and_saveexec_b64 s[52:53], s[50:51]
	s_cbranch_execz .LBB6_390
; %bb.394:                              ;   in Loop: Header=BB6_391 Depth=2
	s_sleep 1
	s_trap 2
	ds_read_b64 v[2:3], v0
	v_accvgpr_read_b32 v10, a12
	v_accvgpr_read_b32 v11, a13
	s_andn2_b64 s[48:49], s[48:49], exec
	s_waitcnt lgkmcnt(0)
	v_cmp_ge_u64_e32 vcc, v[2:3], v[10:11]
	s_orn2_b64 vcc, vcc, exec
	s_branch .LBB6_390
.LBB6_395:                              ;   in Loop: Header=BB6_358 Depth=1
	s_or_b64 exec, exec, s[44:45]
	s_and_saveexec_b64 vcc, s[46:47]
	s_xor_b64 vcc, exec, vcc
	s_cbranch_execz .LBB6_397
; %bb.396:                              ;   in Loop: Header=BB6_358 Depth=1
	v_mov_b32_e32 v2, 1
	ds_write_b32 v0, v2
	s_trap 2
.LBB6_397:                              ;   in Loop: Header=BB6_358 Depth=1
	s_or_b64 exec, exec, s[42:43]
	;;#ASMSTART
	s_wakeup
	;;#ASMEND
.LBB6_398:                              ;   in Loop: Header=BB6_358 Depth=1
	s_or_b64 exec, exec, s[40:41]
.LBB6_399:                              ;   in Loop: Header=BB6_358 Depth=1
	s_andn2_saveexec_b64 vcc, s[38:39]
	s_cbranch_execz .LBB6_401
; %bb.400:                              ;   in Loop: Header=BB6_358 Depth=1
	s_waitcnt lgkmcnt(0)
	s_barrier
.LBB6_401:                              ;   in Loop: Header=BB6_358 Depth=1
	s_or_b64 exec, exec, vcc
.LBB6_402:                              ;   in Loop: Header=BB6_358 Depth=1
	s_or_b64 exec, exec, s[14:15]
	s_trap 2
	ds_read_b32 v2, v0
	v_and_b32_e32 v3, 0x4000, v62
	v_cmp_ne_u32_e32 vcc, 0, v3
	s_and_b64 vcc, s[28:29], vcc
	s_and_saveexec_b64 s[14:15], vcc
	s_cbranch_execz .LBB6_421
; %bb.403:                              ;   in Loop: Header=BB6_358 Depth=1
	s_and_saveexec_b64 vcc, s[24:25]
	s_xor_b64 s[38:39], exec, vcc
	s_cbranch_execz .LBB6_418
; %bb.404:                              ;   in Loop: Header=BB6_358 Depth=1
	s_and_saveexec_b64 s[40:41], s[6:7]
	s_cbranch_execz .LBB6_417
; %bb.405:                              ;   in Loop: Header=BB6_358 Depth=1
	s_mov_b64 s[44:45], exec
	v_mbcnt_lo_u32_b32 v3, s44, 0
	v_mbcnt_hi_u32_b32 v3, s45, v3
	v_cmp_eq_u32_e32 vcc, 0, v3
	s_waitcnt lgkmcnt(0)
	s_and_saveexec_b64 s[42:43], vcc
	s_cbranch_execz .LBB6_407
; %bb.406:                              ;   in Loop: Header=BB6_358 Depth=1
	s_bcnt1_i32_b64 vcc_lo, s[44:45]
	v_mov_b32_e32 v54, vcc_lo
	ds_add_u64 v0, v[54:55]
	s_trap 2
.LBB6_407:                              ;   in Loop: Header=BB6_358 Depth=1
	s_or_b64 exec, exec, s[42:43]
	s_trap 2
	ds_read_b64 v[10:11], v0
	v_accvgpr_read_b32 v12, a12
	v_accvgpr_read_b32 v13, a13
	v_lshl_add_u64 v[12:13], v[12:13], 0, v[52:53]
	v_accvgpr_write_b32 a12, v12
	v_accvgpr_write_b32 a13, v13
	s_waitcnt lgkmcnt(0)
	v_cmp_lt_u64_e32 vcc, v[10:11], v[12:13]
	s_and_saveexec_b64 s[42:43], vcc
	s_cbranch_execz .LBB6_416
; %bb.408:                              ;   in Loop: Header=BB6_358 Depth=1
	s_mov_b32 s54, 0
	s_mov_b64 s[44:45], 0
                                        ; implicit-def: $sgpr46_sgpr47
                                        ; implicit-def: $sgpr48_sgpr49
	s_branch .LBB6_410
.LBB6_409:                              ;   in Loop: Header=BB6_410 Depth=2
	s_or_b64 exec, exec, s[52:53]
	s_and_b64 vcc, exec, vcc
	s_or_b64 s[44:45], vcc, s[44:45]
	s_andn2_b64 vcc, s[46:47], exec
	s_and_b64 s[46:47], s[48:49], exec
	s_or_b64 s[46:47], vcc, s[46:47]
	s_andn2_b64 exec, exec, s[44:45]
	s_cbranch_execz .LBB6_414
.LBB6_410:                              ;   Parent Loop BB6_358 Depth=1
                                        ; =>  This Inner Loop Header: Depth=2
	s_add_i32 s54, s54, 1
	s_cmpk_lg_i32 s54, 0x2710
	s_cselect_b64 s[50:51], -1, 0
	s_and_b64 vcc, exec, s[50:51]
                                        ; implicit-def: $sgpr52_sgpr53
	s_cbranch_vccnz .LBB6_412
; %bb.411:                              ;   in Loop: Header=BB6_410 Depth=2
	s_trap 2
	ds_read_b64 v[10:11], v0
	s_andn2_b64 s[50:51], s[50:51], exec
	s_mov_b32 s54, 0
	s_mov_b64 s[52:53], -1
	s_waitcnt vmcnt(0) lgkmcnt(0)
	flat_load_dword v3, v[10:11] sc0 sc1
	s_waitcnt vmcnt(0) lgkmcnt(0)
	buffer_inv sc0 sc1
	v_cmp_eq_u32_e32 vcc, 0, v3
	s_and_b64 vcc, vcc, exec
	s_or_b64 s[50:51], s[50:51], vcc
.LBB6_412:                              ;   in Loop: Header=BB6_410 Depth=2
	s_andn2_b64 s[48:49], s[48:49], exec
	s_and_b64 s[52:53], s[52:53], exec
	s_mov_b64 vcc, -1
	s_or_b64 s[48:49], s[48:49], s[52:53]
	s_and_saveexec_b64 s[52:53], s[50:51]
	s_cbranch_execz .LBB6_409
; %bb.413:                              ;   in Loop: Header=BB6_410 Depth=2
	s_sleep 1
	s_trap 2
	ds_read_b64 v[10:11], v0
	v_accvgpr_read_b32 v12, a12
	v_accvgpr_read_b32 v13, a13
	s_andn2_b64 s[48:49], s[48:49], exec
	s_waitcnt lgkmcnt(0)
	v_cmp_ge_u64_e32 vcc, v[10:11], v[12:13]
	s_orn2_b64 vcc, vcc, exec
	s_branch .LBB6_409
.LBB6_414:                              ;   in Loop: Header=BB6_358 Depth=1
	s_or_b64 exec, exec, s[44:45]
	s_and_saveexec_b64 vcc, s[46:47]
	s_xor_b64 vcc, exec, vcc
	s_cbranch_execz .LBB6_416
; %bb.415:                              ;   in Loop: Header=BB6_358 Depth=1
	v_mov_b32_e32 v3, 1
	ds_write_b32 v0, v3
	s_trap 2
.LBB6_416:                              ;   in Loop: Header=BB6_358 Depth=1
	s_or_b64 exec, exec, s[42:43]
	;;#ASMSTART
	s_wakeup
	;;#ASMEND
.LBB6_417:                              ;   in Loop: Header=BB6_358 Depth=1
	s_or_b64 exec, exec, s[40:41]
.LBB6_418:                              ;   in Loop: Header=BB6_358 Depth=1
	s_andn2_saveexec_b64 vcc, s[38:39]
	s_cbranch_execz .LBB6_420
; %bb.419:                              ;   in Loop: Header=BB6_358 Depth=1
	s_waitcnt lgkmcnt(0)
	s_barrier
.LBB6_420:                              ;   in Loop: Header=BB6_358 Depth=1
	s_or_b64 exec, exec, vcc
.LBB6_421:                              ;   in Loop: Header=BB6_358 Depth=1
	s_or_b64 exec, exec, s[14:15]
	s_trap 2
	ds_read_b64 v[10:11], v0
	v_min_u32_e32 v46, v46, v58
	s_waitcnt lgkmcnt(0)
	v_readfirstlane_b32 s14, v10
	v_readfirstlane_b32 s15, v11
	s_cmp_eq_u64 s[14:15], 0
	s_cselect_b64 s[14:15], -1, 0
	s_or_b64 vcc, s[14:15], s[14:15]
	s_mov_b64 s[14:15], 0
	s_and_b64 vcc, exec, vcc
	s_cbranch_vccnz .LBB6_582
; %bb.422:                              ;   in Loop: Header=BB6_358 Depth=1
	s_mov_b64 s[14:15], -1
	s_and_saveexec_b64 s[38:39], s[10:11]
	s_cbranch_execz .LBB6_424
; %bb.423:                              ;   in Loop: Header=BB6_358 Depth=1
	ds_read_b32 v3, v0 offset:720
	s_waitcnt lgkmcnt(0)
	v_and_b32_e32 v3, 15, v3
	v_cmp_eq_u32_e32 vcc, 0, v3
	s_orn2_b64 s[14:15], vcc, exec
.LBB6_424:                              ;   in Loop: Header=BB6_358 Depth=1
	s_or_b64 exec, exec, s[38:39]
	s_and_saveexec_b64 s[38:39], s[12:13]
	s_cbranch_execz .LBB6_426
; %bb.425:                              ;   in Loop: Header=BB6_358 Depth=1
	ds_read_b32 v3, v0 offset:784
	s_waitcnt lgkmcnt(0)
	v_and_b32_e32 v3, 15, v3
	v_cmp_eq_u32_e32 vcc, 0, v3
	s_and_b64 vcc, s[14:15], vcc
	s_andn2_b64 s[14:15], s[14:15], exec
	s_and_b64 vcc, vcc, exec
	s_or_b64 s[14:15], s[14:15], vcc
.LBB6_426:                              ;   in Loop: Header=BB6_358 Depth=1
	s_or_b64 exec, exec, s[38:39]
	v_cmp_eq_u32_e32 vcc, 0, v2
	s_xor_b64 s[14:15], s[14:15], -1
	v_cndmask_b32_e64 v10, 0, 1, s[14:15]
	v_cndmask_b32_e32 v2, 0, v46, vcc
	v_mov_b32_e32 v3, 0
	v_lshlrev_b32_e32 v47, 1, v2
	s_mov_b64 s[40:41], -1
	;;#ASMSTART
	;;#ASMEND
	s_nop 0
	v_cmp_ne_u32_e32 vcc, 0, v10
	s_cbranch_vccz .LBB6_428
; %bb.427:                              ;   in Loop: Header=BB6_358 Depth=1
	v_mov_b32_e32 v18, v31
	v_mov_b32_e32 v10, v49
	s_and_saveexec_b64 s[14:15], s[40:41]
	s_cbranch_execnz .LBB6_537
	s_branch .LBB6_581
.LBB6_428:                              ;   in Loop: Header=BB6_358 Depth=1
	v_lshrrev_b32_e32 v3, 10, v2
	v_sub_u32_e32 v54, v3, v49
	v_cmp_lt_i32_e32 vcc, 0, v54
	s_and_saveexec_b64 s[14:15], vcc
	s_cbranch_execz .LBB6_496
; %bb.429:                              ;   in Loop: Header=BB6_358 Depth=1
	s_trap 2
	ds_read_b128 v[10:13], v0
	ds_read_b64 v[14:15], v0
	v_accvgpr_read_b32 v17, a15
	v_accvgpr_read_b32 v16, a14
	v_accvgpr_write_b32 a18, v3
	v_accvgpr_write_b32 a17, v51
	;; [unrolled: 1-line block ×3, first 2 shown]
	v_mov_b32_e32 v27, v49
	s_waitcnt lgkmcnt(0)
	v_lshl_add_u64 v[28:29], v[10:11], 0, v[16:17]
	v_lshl_add_u64 v[60:61], v[12:13], 0, v[16:17]
	;; [unrolled: 1-line block ×3, first 2 shown]
	s_mov_b64 s[38:39], 0
	s_branch .LBB6_431
.LBB6_430:                              ;   in Loop: Header=BB6_431 Depth=2
	s_or_b64 exec, exec, s[40:41]
	v_lshrrev_b32_e32 v10, 16, v32
	v_and_or_b32 v49, v23, s61, v10
	v_lshrrev_b32_e32 v10, 16, v59
	v_and_or_b32 v48, v22, s61, v10
	;; [unrolled: 2-line block ×4, first 2 shown]
	v_lshrrev_b32_e32 v10, 16, v18
	v_lshrrev_b32_e32 v13, 16, v19
	v_sub_u32_e32 v54, v54, v52
	v_and_or_b32 v11, v15, s61, v10
	v_lshrrev_b32_e32 v10, 16, v25
	v_and_or_b32 v12, v12, s61, v13
	v_lshrrev_b32_e32 v13, 16, v16
	v_cmp_gt_i32_e32 vcc, 1, v54
	v_and_or_b32 v10, v14, s61, v10
	v_and_or_b32 v13, v3, s61, v13
	global_store_dwordx4 v[40:41], v[48:51], off nt
	global_store_dwordx4 v[40:41], v[10:13], off offset:1024 nt
	v_lshl_add_u64 v[28:29], v[28:29], 0, v[42:43]
	v_lshl_add_u64 v[60:61], v[60:61], 0, v[42:43]
	s_or_b64 s[38:39], vcc, s[38:39]
	v_lshl_add_u64 v[40:41], v[40:41], 0, v[42:43]
	s_andn2_b64 exec, exec, s[38:39]
	s_cbranch_execz .LBB6_495
.LBB6_431:                              ;   Parent Loop BB6_358 Depth=1
                                        ; =>  This Inner Loop Header: Depth=2
	global_load_dwordx4 v[18:21], v[60:61], off nt
	global_load_dwordx4 v[22:25], v[28:29], off nt
	global_load_dwordx4 v[14:17], v[28:29], off offset:1024 nt
	global_load_dwordx4 v[10:13], v[60:61], off offset:1024 nt
                                        ; implicit-def: $vgpr59
	s_waitcnt vmcnt(0)
	v_lshlrev_b32_e32 v26, 16, v18
	v_lshlrev_b32_e32 v32, 16, v22
	v_pk_mul_f32 v[32:33], v[26:27], v[32:33] op_sel_hi:[0,1]
	v_and_b32_e32 v3, 0x7f800000, v32
	v_cmp_ne_u32_e32 vcc, s58, v3
	s_and_saveexec_b64 s[40:41], vcc
	s_xor_b64 vcc, exec, s[40:41]
; %bb.432:                              ;   in Loop: Header=BB6_431 Depth=2
	v_bfe_u32 v3, v32, 16, 1
	v_add3_u32 v59, v32, v3, s59
                                        ; implicit-def: $vgpr32_vgpr33
; %bb.433:                              ;   in Loop: Header=BB6_431 Depth=2
	s_andn2_saveexec_b64 s[40:41], vcc
; %bb.434:                              ;   in Loop: Header=BB6_431 Depth=2
	v_or_b32_e32 v3, 0x10000, v32
	v_cmp_eq_u32_sdwa vcc, v32, v55 src0_sel:WORD_0 src1_sel:DWORD
	s_nop 1
	v_cndmask_b32_e32 v59, v3, v32, vcc
; %bb.435:                              ;   in Loop: Header=BB6_431 Depth=2
	s_or_b64 exec, exec, s[40:41]
	v_and_b32_e32 v18, 0xffff0000, v18
	v_and_b32_e32 v22, 0xffff0000, v22
	v_pk_mul_f32 v[32:33], v[18:19], v[22:23] op_sel_hi:[0,1]
	v_and_b32_e32 v3, 0x7f800000, v32
	v_cmp_ne_u32_e32 vcc, s58, v3
                                        ; implicit-def: $vgpr22
	s_and_saveexec_b64 s[40:41], vcc
	s_xor_b64 vcc, exec, s[40:41]
; %bb.436:                              ;   in Loop: Header=BB6_431 Depth=2
	v_bfe_u32 v3, v32, 16, 1
	v_add3_u32 v22, v32, v3, s59
                                        ; implicit-def: $vgpr32_vgpr33
; %bb.437:                              ;   in Loop: Header=BB6_431 Depth=2
	s_andn2_saveexec_b64 s[40:41], vcc
; %bb.438:                              ;   in Loop: Header=BB6_431 Depth=2
	v_or_b32_e32 v3, 0x10000, v32
	v_cmp_eq_u32_sdwa vcc, v32, v55 src0_sel:WORD_0 src1_sel:DWORD
	s_nop 1
	v_cndmask_b32_e32 v22, v3, v32, vcc
; %bb.439:                              ;   in Loop: Header=BB6_431 Depth=2
	s_or_b64 exec, exec, s[40:41]
	v_mov_b32_e32 v3, v19
	v_lshlrev_b32_e32 v18, 16, v3
	v_lshlrev_b32_e32 v26, 16, v23
	v_pk_mul_f32 v[18:19], v[18:19], v[26:27] op_sel_hi:[0,1]
	v_and_b32_e32 v19, 0x7f800000, v18
	v_cmp_ne_u32_e32 vcc, s58, v19
                                        ; implicit-def: $vgpr32
	s_and_saveexec_b64 s[40:41], vcc
	s_xor_b64 vcc, exec, s[40:41]
; %bb.440:                              ;   in Loop: Header=BB6_431 Depth=2
	v_bfe_u32 v19, v18, 16, 1
	v_add3_u32 v32, v18, v19, s59
                                        ; implicit-def: $vgpr18_vgpr19
; %bb.441:                              ;   in Loop: Header=BB6_431 Depth=2
	s_andn2_saveexec_b64 s[40:41], vcc
; %bb.442:                              ;   in Loop: Header=BB6_431 Depth=2
	v_or_b32_e32 v19, 0x10000, v18
	v_cmp_eq_u32_sdwa vcc, v18, v55 src0_sel:WORD_0 src1_sel:DWORD
	s_nop 1
	v_cndmask_b32_e32 v32, v19, v18, vcc
; %bb.443:                              ;   in Loop: Header=BB6_431 Depth=2
	s_or_b64 exec, exec, s[40:41]
	v_and_b32_e32 v18, 0xffff0000, v3
	v_and_b32_e32 v26, 0xffff0000, v23
	v_pk_mul_f32 v[18:19], v[18:19], v[26:27] op_sel_hi:[0,1]
	v_and_b32_e32 v3, 0x7f800000, v18
	v_cmp_ne_u32_e32 vcc, s58, v3
                                        ; implicit-def: $vgpr23
	s_and_saveexec_b64 s[40:41], vcc
	s_xor_b64 vcc, exec, s[40:41]
; %bb.444:                              ;   in Loop: Header=BB6_431 Depth=2
	v_bfe_u32 v3, v18, 16, 1
	v_add3_u32 v23, v18, v3, s59
                                        ; implicit-def: $vgpr18_vgpr19
; %bb.445:                              ;   in Loop: Header=BB6_431 Depth=2
	s_andn2_saveexec_b64 s[40:41], vcc
; %bb.446:                              ;   in Loop: Header=BB6_431 Depth=2
	v_or_b32_e32 v3, 0x10000, v18
	v_cmp_eq_u32_sdwa vcc, v18, v55 src0_sel:WORD_0 src1_sel:DWORD
	s_nop 1
	v_cndmask_b32_e32 v23, v3, v18, vcc
; %bb.447:                              ;   in Loop: Header=BB6_431 Depth=2
	s_or_b64 exec, exec, s[40:41]
	v_lshlrev_b32_e32 v18, 16, v20
	v_lshlrev_b32_e32 v26, 16, v24
	v_pk_mul_f32 v[18:19], v[18:19], v[26:27] op_sel_hi:[0,1]
	v_and_b32_e32 v3, 0x7f800000, v18
	v_cmp_ne_u32_e32 vcc, s58, v3
                                        ; implicit-def: $vgpr33
	s_and_saveexec_b64 s[40:41], vcc
	s_xor_b64 vcc, exec, s[40:41]
; %bb.448:                              ;   in Loop: Header=BB6_431 Depth=2
	v_bfe_u32 v3, v18, 16, 1
	v_add3_u32 v33, v18, v3, s59
                                        ; implicit-def: $vgpr18_vgpr19
; %bb.449:                              ;   in Loop: Header=BB6_431 Depth=2
	s_andn2_saveexec_b64 s[40:41], vcc
; %bb.450:                              ;   in Loop: Header=BB6_431 Depth=2
	v_or_b32_e32 v3, 0x10000, v18
	v_cmp_eq_u32_sdwa vcc, v18, v55 src0_sel:WORD_0 src1_sel:DWORD
	s_nop 1
	v_cndmask_b32_e32 v33, v3, v18, vcc
; %bb.451:                              ;   in Loop: Header=BB6_431 Depth=2
	s_or_b64 exec, exec, s[40:41]
	v_and_b32_e32 v18, 0xffff0000, v20
	v_and_b32_e32 v20, 0xffff0000, v24
	v_pk_mul_f32 v[18:19], v[18:19], v[20:21] op_sel_hi:[0,1]
	v_and_b32_e32 v3, 0x7f800000, v18
	v_cmp_ne_u32_e32 vcc, s58, v3
                                        ; implicit-def: $vgpr20
	s_and_saveexec_b64 s[40:41], vcc
	s_xor_b64 vcc, exec, s[40:41]
; %bb.452:                              ;   in Loop: Header=BB6_431 Depth=2
	v_bfe_u32 v3, v18, 16, 1
	v_add3_u32 v20, v18, v3, s59
                                        ; implicit-def: $vgpr18_vgpr19
; %bb.453:                              ;   in Loop: Header=BB6_431 Depth=2
	s_andn2_saveexec_b64 s[40:41], vcc
; %bb.454:                              ;   in Loop: Header=BB6_431 Depth=2
	v_or_b32_e32 v3, 0x10000, v18
	v_cmp_eq_u32_sdwa vcc, v18, v55 src0_sel:WORD_0 src1_sel:DWORD
	s_nop 1
	v_cndmask_b32_e32 v20, v3, v18, vcc
; %bb.455:                              ;   in Loop: Header=BB6_431 Depth=2
	s_or_b64 exec, exec, s[40:41]
	v_mov_b32_e32 v3, v25
	v_lshlrev_b32_e32 v18, 16, v21
	v_lshlrev_b32_e32 v24, 16, v3
	v_pk_mul_f32 v[18:19], v[18:19], v[24:25] op_sel_hi:[0,1]
	v_and_b32_e32 v19, 0x7f800000, v18
	v_cmp_ne_u32_e32 vcc, s58, v19
                                        ; implicit-def: $vgpr24
	s_and_saveexec_b64 s[40:41], vcc
	s_xor_b64 vcc, exec, s[40:41]
; %bb.456:                              ;   in Loop: Header=BB6_431 Depth=2
	v_bfe_u32 v19, v18, 16, 1
	v_add3_u32 v24, v18, v19, s59
                                        ; implicit-def: $vgpr18_vgpr19
; %bb.457:                              ;   in Loop: Header=BB6_431 Depth=2
	s_andn2_saveexec_b64 s[40:41], vcc
; %bb.458:                              ;   in Loop: Header=BB6_431 Depth=2
	v_or_b32_e32 v19, 0x10000, v18
	v_cmp_eq_u32_sdwa vcc, v18, v55 src0_sel:WORD_0 src1_sel:DWORD
	s_nop 1
	v_cndmask_b32_e32 v24, v19, v18, vcc
; %bb.459:                              ;   in Loop: Header=BB6_431 Depth=2
	s_or_b64 exec, exec, s[40:41]
	v_and_b32_e32 v18, 0xffff0000, v21
	v_and_b32_e32 v26, 0xffff0000, v3
	v_pk_mul_f32 v[18:19], v[18:19], v[26:27] op_sel_hi:[0,1]
	v_and_b32_e32 v3, 0x7f800000, v18
	v_cmp_ne_u32_e32 vcc, s58, v3
                                        ; implicit-def: $vgpr21
	s_and_saveexec_b64 s[40:41], vcc
	s_xor_b64 vcc, exec, s[40:41]
; %bb.460:                              ;   in Loop: Header=BB6_431 Depth=2
	v_bfe_u32 v3, v18, 16, 1
	v_add3_u32 v21, v18, v3, s59
                                        ; implicit-def: $vgpr18_vgpr19
; %bb.461:                              ;   in Loop: Header=BB6_431 Depth=2
	s_andn2_saveexec_b64 s[40:41], vcc
; %bb.462:                              ;   in Loop: Header=BB6_431 Depth=2
	v_or_b32_e32 v3, 0x10000, v18
	v_cmp_eq_u32_sdwa vcc, v18, v55 src0_sel:WORD_0 src1_sel:DWORD
	s_nop 1
	v_cndmask_b32_e32 v21, v3, v18, vcc
; %bb.463:                              ;   in Loop: Header=BB6_431 Depth=2
	s_or_b64 exec, exec, s[40:41]
	v_lshlrev_b32_e32 v18, 16, v10
	v_lshlrev_b32_e32 v26, 16, v14
	v_pk_mul_f32 v[18:19], v[18:19], v[26:27] op_sel_hi:[0,1]
	v_and_b32_e32 v3, 0x7f800000, v18
	v_cmp_ne_u32_e32 vcc, s58, v3
                                        ; implicit-def: $vgpr25
	s_and_saveexec_b64 s[40:41], vcc
	s_xor_b64 vcc, exec, s[40:41]
; %bb.464:                              ;   in Loop: Header=BB6_431 Depth=2
	v_bfe_u32 v3, v18, 16, 1
	v_add3_u32 v25, v18, v3, s59
                                        ; implicit-def: $vgpr18_vgpr19
; %bb.465:                              ;   in Loop: Header=BB6_431 Depth=2
	s_andn2_saveexec_b64 s[40:41], vcc
; %bb.466:                              ;   in Loop: Header=BB6_431 Depth=2
	v_or_b32_e32 v3, 0x10000, v18
	v_cmp_eq_u32_sdwa vcc, v18, v55 src0_sel:WORD_0 src1_sel:DWORD
	s_nop 1
	v_cndmask_b32_e32 v25, v3, v18, vcc
; %bb.467:                              ;   in Loop: Header=BB6_431 Depth=2
	s_or_b64 exec, exec, s[40:41]
	v_and_b32_e32 v10, 0xffff0000, v10
	v_and_b32_e32 v14, 0xffff0000, v14
	v_pk_mul_f32 v[18:19], v[10:11], v[14:15] op_sel_hi:[0,1]
	v_and_b32_e32 v3, 0x7f800000, v18
	v_cmp_ne_u32_e32 vcc, s58, v3
                                        ; implicit-def: $vgpr14
	s_and_saveexec_b64 s[40:41], vcc
	s_xor_b64 vcc, exec, s[40:41]
; %bb.468:                              ;   in Loop: Header=BB6_431 Depth=2
	v_bfe_u32 v3, v18, 16, 1
	v_add3_u32 v14, v18, v3, s59
                                        ; implicit-def: $vgpr18_vgpr19
; %bb.469:                              ;   in Loop: Header=BB6_431 Depth=2
	s_andn2_saveexec_b64 s[40:41], vcc
; %bb.470:                              ;   in Loop: Header=BB6_431 Depth=2
	v_or_b32_e32 v3, 0x10000, v18
	v_cmp_eq_u32_sdwa vcc, v18, v55 src0_sel:WORD_0 src1_sel:DWORD
	s_nop 1
	v_cndmask_b32_e32 v14, v3, v18, vcc
; %bb.471:                              ;   in Loop: Header=BB6_431 Depth=2
	s_or_b64 exec, exec, s[40:41]
	v_mov_b32_e32 v3, v11
	v_lshlrev_b32_e32 v10, 16, v3
	v_lshlrev_b32_e32 v18, 16, v15
	v_pk_mul_f32 v[10:11], v[10:11], v[18:19] op_sel_hi:[0,1]
	v_and_b32_e32 v11, 0x7f800000, v10
	v_cmp_ne_u32_e32 vcc, s58, v11
                                        ; implicit-def: $vgpr18
	s_and_saveexec_b64 s[40:41], vcc
	s_xor_b64 vcc, exec, s[40:41]
; %bb.472:                              ;   in Loop: Header=BB6_431 Depth=2
	v_bfe_u32 v11, v10, 16, 1
	v_add3_u32 v18, v10, v11, s59
                                        ; implicit-def: $vgpr10_vgpr11
; %bb.473:                              ;   in Loop: Header=BB6_431 Depth=2
	s_andn2_saveexec_b64 s[40:41], vcc
; %bb.474:                              ;   in Loop: Header=BB6_431 Depth=2
	v_or_b32_e32 v11, 0x10000, v10
	v_cmp_eq_u32_sdwa vcc, v10, v55 src0_sel:WORD_0 src1_sel:DWORD
	s_nop 1
	v_cndmask_b32_e32 v18, v11, v10, vcc
; %bb.475:                              ;   in Loop: Header=BB6_431 Depth=2
	s_or_b64 exec, exec, s[40:41]
	v_and_b32_e32 v10, 0xffff0000, v3
	v_and_b32_e32 v26, 0xffff0000, v15
	v_pk_mul_f32 v[10:11], v[10:11], v[26:27] op_sel_hi:[0,1]
	v_and_b32_e32 v3, 0x7f800000, v10
	v_cmp_ne_u32_e32 vcc, s58, v3
                                        ; implicit-def: $vgpr15
	s_and_saveexec_b64 s[40:41], vcc
	s_xor_b64 vcc, exec, s[40:41]
; %bb.476:                              ;   in Loop: Header=BB6_431 Depth=2
	v_bfe_u32 v3, v10, 16, 1
	v_add3_u32 v15, v10, v3, s59
                                        ; implicit-def: $vgpr10_vgpr11
; %bb.477:                              ;   in Loop: Header=BB6_431 Depth=2
	s_andn2_saveexec_b64 s[40:41], vcc
; %bb.478:                              ;   in Loop: Header=BB6_431 Depth=2
	v_or_b32_e32 v3, 0x10000, v10
	v_cmp_eq_u32_sdwa vcc, v10, v55 src0_sel:WORD_0 src1_sel:DWORD
	s_nop 1
	v_cndmask_b32_e32 v15, v3, v10, vcc
; %bb.479:                              ;   in Loop: Header=BB6_431 Depth=2
	s_or_b64 exec, exec, s[40:41]
	v_lshlrev_b32_e32 v10, 16, v12
	v_lshlrev_b32_e32 v26, 16, v16
	v_pk_mul_f32 v[10:11], v[10:11], v[26:27] op_sel_hi:[0,1]
	v_and_b32_e32 v3, 0x7f800000, v10
	v_cmp_ne_u32_e32 vcc, s58, v3
                                        ; implicit-def: $vgpr19
	s_and_saveexec_b64 s[40:41], vcc
	s_xor_b64 vcc, exec, s[40:41]
; %bb.480:                              ;   in Loop: Header=BB6_431 Depth=2
	v_bfe_u32 v3, v10, 16, 1
	v_add3_u32 v19, v10, v3, s59
                                        ; implicit-def: $vgpr10_vgpr11
; %bb.481:                              ;   in Loop: Header=BB6_431 Depth=2
	s_andn2_saveexec_b64 s[40:41], vcc
; %bb.482:                              ;   in Loop: Header=BB6_431 Depth=2
	v_or_b32_e32 v3, 0x10000, v10
	v_cmp_eq_u32_sdwa vcc, v10, v55 src0_sel:WORD_0 src1_sel:DWORD
	s_nop 1
	v_cndmask_b32_e32 v19, v3, v10, vcc
; %bb.483:                              ;   in Loop: Header=BB6_431 Depth=2
	s_or_b64 exec, exec, s[40:41]
	v_and_b32_e32 v10, 0xffff0000, v12
	v_and_b32_e32 v12, 0xffff0000, v16
	v_pk_mul_f32 v[10:11], v[10:11], v[12:13] op_sel_hi:[0,1]
	v_and_b32_e32 v3, 0x7f800000, v10
	v_cmp_ne_u32_e32 vcc, s58, v3
                                        ; implicit-def: $vgpr12
	s_and_saveexec_b64 s[40:41], vcc
	s_xor_b64 vcc, exec, s[40:41]
; %bb.484:                              ;   in Loop: Header=BB6_431 Depth=2
	v_bfe_u32 v3, v10, 16, 1
	v_add3_u32 v12, v10, v3, s59
                                        ; implicit-def: $vgpr10_vgpr11
; %bb.485:                              ;   in Loop: Header=BB6_431 Depth=2
	s_andn2_saveexec_b64 s[40:41], vcc
; %bb.486:                              ;   in Loop: Header=BB6_431 Depth=2
	v_or_b32_e32 v3, 0x10000, v10
	v_cmp_eq_u32_sdwa vcc, v10, v55 src0_sel:WORD_0 src1_sel:DWORD
	s_nop 1
	v_cndmask_b32_e32 v12, v3, v10, vcc
; %bb.487:                              ;   in Loop: Header=BB6_431 Depth=2
	s_or_b64 exec, exec, s[40:41]
	v_mov_b32_e32 v3, v17
	v_lshlrev_b32_e32 v10, 16, v13
	v_lshlrev_b32_e32 v16, 16, v3
	v_pk_mul_f32 v[10:11], v[10:11], v[16:17] op_sel_hi:[0,1]
	v_and_b32_e32 v11, 0x7f800000, v10
	v_cmp_ne_u32_e32 vcc, s58, v11
                                        ; implicit-def: $vgpr16
	s_and_saveexec_b64 s[40:41], vcc
	s_xor_b64 vcc, exec, s[40:41]
; %bb.488:                              ;   in Loop: Header=BB6_431 Depth=2
	v_bfe_u32 v11, v10, 16, 1
	v_add3_u32 v16, v10, v11, s59
                                        ; implicit-def: $vgpr10_vgpr11
; %bb.489:                              ;   in Loop: Header=BB6_431 Depth=2
	s_andn2_saveexec_b64 s[40:41], vcc
; %bb.490:                              ;   in Loop: Header=BB6_431 Depth=2
	v_or_b32_e32 v11, 0x10000, v10
	v_cmp_eq_u32_sdwa vcc, v10, v55 src0_sel:WORD_0 src1_sel:DWORD
	s_nop 1
	v_cndmask_b32_e32 v16, v11, v10, vcc
; %bb.491:                              ;   in Loop: Header=BB6_431 Depth=2
	s_or_b64 exec, exec, s[40:41]
	v_and_b32_e32 v10, 0xffff0000, v13
	v_and_b32_e32 v26, 0xffff0000, v3
	v_pk_mul_f32 v[10:11], v[10:11], v[26:27] op_sel_hi:[0,1]
	v_and_b32_e32 v3, 0x7f800000, v10
	v_cmp_ne_u32_e32 vcc, s58, v3
                                        ; implicit-def: $vgpr3
	s_and_saveexec_b64 s[40:41], vcc
	s_xor_b64 vcc, exec, s[40:41]
; %bb.492:                              ;   in Loop: Header=BB6_431 Depth=2
	v_bfe_u32 v3, v10, 16, 1
	v_add3_u32 v3, v10, v3, s59
                                        ; implicit-def: $vgpr10_vgpr11
; %bb.493:                              ;   in Loop: Header=BB6_431 Depth=2
	s_andn2_saveexec_b64 s[40:41], vcc
	s_cbranch_execz .LBB6_430
; %bb.494:                              ;   in Loop: Header=BB6_431 Depth=2
	v_or_b32_e32 v3, 0x10000, v10
	v_cmp_eq_u32_sdwa vcc, v10, v55 src0_sel:WORD_0 src1_sel:DWORD
	s_nop 1
	v_cndmask_b32_e32 v3, v3, v10, vcc
	s_branch .LBB6_430
.LBB6_495:                              ;   in Loop: Header=BB6_358 Depth=1
	s_or_b64 exec, exec, s[38:39]
	v_mov_b32_e32 v49, v27
	v_accvgpr_read_b32 v50, a16
	v_accvgpr_read_b32 v51, a17
	;; [unrolled: 1-line block ×3, first 2 shown]
.LBB6_496:                              ;   in Loop: Header=BB6_358 Depth=1
	s_or_b64 exec, exec, s[14:15]
	v_lshlrev_b32_e32 v26, 11, v3
	v_cmp_ne_u32_e32 vcc, v47, v26
	s_mov_b64 s[40:41], 0
	v_mov_b32_e32 v3, 0
                                        ; implicit-def: $vgpr18
                                        ; implicit-def: $vgpr10
	s_and_saveexec_b64 s[38:39], vcc
	s_cbranch_execz .LBB6_536
; %bb.497:                              ;   in Loop: Header=BB6_358 Depth=1
	v_lshlrev_b32_e32 v3, 6, v54
	v_accvgpr_read_b32 v11, a9
	v_sub_u32_e32 v3, v11, v3
	v_ashrrev_i32_e32 v11, 31, v3
	v_lshrrev_b32_e32 v11, 26, v11
	v_add_u32_e32 v11, v3, v11
	v_sub_u32_e32 v10, v47, v26
	v_ashrrev_i32_e32 v12, 6, v11
	v_and_b32_e32 v11, 0xffffffc0, v11
	v_sub_u32_e32 v27, v3, v11
	v_ashrrev_i32_e32 v11, 31, v10
	v_lshrrev_b32_e32 v11, 22, v11
	v_add_u32_e32 v11, v10, v11
	v_and_b32_e32 v28, 0xfffffc00, v11
	v_lshlrev_b32_e32 v3, 4, v27
	v_sub_u32_e32 v32, v10, v28
	v_lshl_add_u32 v3, v12, 10, v3
	v_ashrrev_i32_e32 v13, 10, v11
	v_cmp_lt_i32_e32 vcc, 15, v32
	v_sub_u32_e32 v33, v10, v3
	s_nop 0
	v_addc_co_u32_e64 v10, s[14:15], 0, v13, vcc
	v_sub_u32_e32 v29, v10, v12
	v_cmp_lt_i32_e64 s[14:15], 15, v33
	s_and_saveexec_b64 s[40:41], s[14:15]
	s_cbranch_execz .LBB6_533
; %bb.498:                              ;   in Loop: Header=BB6_358 Depth=1
	s_trap 2
	ds_read_b128 v[10:13], v0
	ds_read_b64 v[14:15], v0
	v_add_u32_e32 v16, v3, v26
	v_ashrrev_i32_e32 v17, 31, v16
	s_mov_b64 s[42:43], 0
	s_waitcnt lgkmcnt(0)
	v_lshl_add_u64 v[18:19], v[10:11], 0, v[16:17]
	v_lshl_add_u64 v[20:21], v[12:13], 0, v[16:17]
	;; [unrolled: 1-line block ×3, first 2 shown]
	s_branch .LBB6_500
.LBB6_499:                              ;   in Loop: Header=BB6_500 Depth=2
	s_or_b64 exec, exec, s[44:45]
	v_lshrrev_b32_e32 v10, 16, v24
	v_lshrrev_b32_e32 v13, 16, v25
	v_and_or_b32 v11, v15, s61, v10
	v_lshrrev_b32_e32 v10, 16, v54
	v_and_or_b32 v12, v12, s61, v13
	v_lshrrev_b32_e32 v13, 16, v16
	v_sub_u32_e32 v33, v33, v50
	v_and_or_b32 v10, v14, s61, v10
	v_and_or_b32 v13, v3, s61, v13
	v_cmp_gt_i32_e64 s[14:15], 16, v33
	global_store_dwordx4 v[22:23], v[10:13], off nt
	v_lshl_add_u64 v[18:19], v[18:19], 0, v[44:45]
	v_lshl_add_u64 v[20:21], v[20:21], 0, v[44:45]
	;; [unrolled: 1-line block ×3, first 2 shown]
	s_or_b64 s[42:43], s[14:15], s[42:43]
	v_sub_u32_e32 v29, v29, v52
	s_andn2_b64 exec, exec, s[42:43]
	s_cbranch_execz .LBB6_532
.LBB6_500:                              ;   Parent Loop BB6_358 Depth=1
                                        ; =>  This Inner Loop Header: Depth=2
	global_load_dwordx4 v[10:13], v[20:21], off nt
	global_load_dwordx4 v[14:17], v[18:19], off nt
                                        ; implicit-def: $vgpr54
	s_waitcnt vmcnt(0)
	v_lshlrev_b32_e32 v24, 16, v10
	v_lshlrev_b32_e32 v48, 16, v14
	v_pk_mul_f32 v[24:25], v[24:25], v[48:49] op_sel_hi:[0,1]
	v_and_b32_e32 v3, 0x7f800000, v24
	v_cmp_ne_u32_e64 s[14:15], s58, v3
	s_and_saveexec_b64 s[44:45], s[14:15]
	s_xor_b64 s[14:15], exec, s[44:45]
; %bb.501:                              ;   in Loop: Header=BB6_500 Depth=2
	v_bfe_u32 v3, v24, 16, 1
	v_add3_u32 v54, v24, v3, s59
                                        ; implicit-def: $vgpr24_vgpr25
; %bb.502:                              ;   in Loop: Header=BB6_500 Depth=2
	s_andn2_saveexec_b64 s[44:45], s[14:15]
; %bb.503:                              ;   in Loop: Header=BB6_500 Depth=2
	v_or_b32_e32 v3, 0x10000, v24
	v_cmp_eq_u32_sdwa s[14:15], v24, v55 src0_sel:WORD_0 src1_sel:DWORD
	s_nop 1
	v_cndmask_b32_e64 v54, v3, v24, s[14:15]
; %bb.504:                              ;   in Loop: Header=BB6_500 Depth=2
	s_or_b64 exec, exec, s[44:45]
	v_and_b32_e32 v10, 0xffff0000, v10
	v_and_b32_e32 v14, 0xffff0000, v14
	v_pk_mul_f32 v[24:25], v[10:11], v[14:15] op_sel_hi:[0,1]
	v_and_b32_e32 v3, 0x7f800000, v24
	v_cmp_ne_u32_e64 s[14:15], s58, v3
                                        ; implicit-def: $vgpr14
	s_and_saveexec_b64 s[44:45], s[14:15]
	s_xor_b64 s[14:15], exec, s[44:45]
; %bb.505:                              ;   in Loop: Header=BB6_500 Depth=2
	v_bfe_u32 v3, v24, 16, 1
	v_add3_u32 v14, v24, v3, s59
                                        ; implicit-def: $vgpr24_vgpr25
; %bb.506:                              ;   in Loop: Header=BB6_500 Depth=2
	s_andn2_saveexec_b64 s[44:45], s[14:15]
; %bb.507:                              ;   in Loop: Header=BB6_500 Depth=2
	v_or_b32_e32 v3, 0x10000, v24
	v_cmp_eq_u32_sdwa s[14:15], v24, v55 src0_sel:WORD_0 src1_sel:DWORD
	s_nop 1
	v_cndmask_b32_e64 v14, v3, v24, s[14:15]
; %bb.508:                              ;   in Loop: Header=BB6_500 Depth=2
	s_or_b64 exec, exec, s[44:45]
	v_mov_b32_e32 v3, v11
	v_lshlrev_b32_e32 v10, 16, v3
	v_lshlrev_b32_e32 v24, 16, v15
	v_pk_mul_f32 v[10:11], v[10:11], v[24:25] op_sel_hi:[0,1]
	v_and_b32_e32 v11, 0x7f800000, v10
	v_cmp_ne_u32_e64 s[14:15], s58, v11
                                        ; implicit-def: $vgpr24
	s_and_saveexec_b64 s[44:45], s[14:15]
	s_xor_b64 s[14:15], exec, s[44:45]
; %bb.509:                              ;   in Loop: Header=BB6_500 Depth=2
	v_bfe_u32 v11, v10, 16, 1
	v_add3_u32 v24, v10, v11, s59
                                        ; implicit-def: $vgpr10_vgpr11
; %bb.510:                              ;   in Loop: Header=BB6_500 Depth=2
	s_andn2_saveexec_b64 s[44:45], s[14:15]
; %bb.511:                              ;   in Loop: Header=BB6_500 Depth=2
	v_or_b32_e32 v11, 0x10000, v10
	v_cmp_eq_u32_sdwa s[14:15], v10, v55 src0_sel:WORD_0 src1_sel:DWORD
	s_nop 1
	v_cndmask_b32_e64 v24, v11, v10, s[14:15]
; %bb.512:                              ;   in Loop: Header=BB6_500 Depth=2
	s_or_b64 exec, exec, s[44:45]
	v_and_b32_e32 v10, 0xffff0000, v3
	v_and_b32_e32 v48, 0xffff0000, v15
	v_pk_mul_f32 v[10:11], v[10:11], v[48:49] op_sel_hi:[0,1]
	v_and_b32_e32 v3, 0x7f800000, v10
	v_cmp_ne_u32_e64 s[14:15], s58, v3
                                        ; implicit-def: $vgpr15
	s_and_saveexec_b64 s[44:45], s[14:15]
	s_xor_b64 s[14:15], exec, s[44:45]
; %bb.513:                              ;   in Loop: Header=BB6_500 Depth=2
	v_bfe_u32 v3, v10, 16, 1
	v_add3_u32 v15, v10, v3, s59
                                        ; implicit-def: $vgpr10_vgpr11
; %bb.514:                              ;   in Loop: Header=BB6_500 Depth=2
	s_andn2_saveexec_b64 s[44:45], s[14:15]
; %bb.515:                              ;   in Loop: Header=BB6_500 Depth=2
	v_or_b32_e32 v3, 0x10000, v10
	v_cmp_eq_u32_sdwa s[14:15], v10, v55 src0_sel:WORD_0 src1_sel:DWORD
	s_nop 1
	v_cndmask_b32_e64 v15, v3, v10, s[14:15]
; %bb.516:                              ;   in Loop: Header=BB6_500 Depth=2
	s_or_b64 exec, exec, s[44:45]
	v_lshlrev_b32_e32 v10, 16, v12
	v_lshlrev_b32_e32 v48, 16, v16
	v_pk_mul_f32 v[10:11], v[10:11], v[48:49] op_sel_hi:[0,1]
	v_and_b32_e32 v3, 0x7f800000, v10
	v_cmp_ne_u32_e64 s[14:15], s58, v3
                                        ; implicit-def: $vgpr25
	s_and_saveexec_b64 s[44:45], s[14:15]
	s_xor_b64 s[14:15], exec, s[44:45]
; %bb.517:                              ;   in Loop: Header=BB6_500 Depth=2
	v_bfe_u32 v3, v10, 16, 1
	v_add3_u32 v25, v10, v3, s59
                                        ; implicit-def: $vgpr10_vgpr11
; %bb.518:                              ;   in Loop: Header=BB6_500 Depth=2
	s_andn2_saveexec_b64 s[44:45], s[14:15]
; %bb.519:                              ;   in Loop: Header=BB6_500 Depth=2
	v_or_b32_e32 v3, 0x10000, v10
	v_cmp_eq_u32_sdwa s[14:15], v10, v55 src0_sel:WORD_0 src1_sel:DWORD
	s_nop 1
	v_cndmask_b32_e64 v25, v3, v10, s[14:15]
; %bb.520:                              ;   in Loop: Header=BB6_500 Depth=2
	s_or_b64 exec, exec, s[44:45]
	v_and_b32_e32 v10, 0xffff0000, v12
	v_and_b32_e32 v12, 0xffff0000, v16
	v_pk_mul_f32 v[10:11], v[10:11], v[12:13] op_sel_hi:[0,1]
	v_and_b32_e32 v3, 0x7f800000, v10
	v_cmp_ne_u32_e64 s[14:15], s58, v3
                                        ; implicit-def: $vgpr12
	s_and_saveexec_b64 s[44:45], s[14:15]
	s_xor_b64 s[14:15], exec, s[44:45]
; %bb.521:                              ;   in Loop: Header=BB6_500 Depth=2
	v_bfe_u32 v3, v10, 16, 1
	v_add3_u32 v12, v10, v3, s59
                                        ; implicit-def: $vgpr10_vgpr11
; %bb.522:                              ;   in Loop: Header=BB6_500 Depth=2
	s_andn2_saveexec_b64 s[44:45], s[14:15]
; %bb.523:                              ;   in Loop: Header=BB6_500 Depth=2
	v_or_b32_e32 v3, 0x10000, v10
	v_cmp_eq_u32_sdwa s[14:15], v10, v55 src0_sel:WORD_0 src1_sel:DWORD
	s_nop 1
	v_cndmask_b32_e64 v12, v3, v10, s[14:15]
; %bb.524:                              ;   in Loop: Header=BB6_500 Depth=2
	s_or_b64 exec, exec, s[44:45]
	v_mov_b32_e32 v3, v17
	v_lshlrev_b32_e32 v10, 16, v13
	v_lshlrev_b32_e32 v16, 16, v3
	v_pk_mul_f32 v[10:11], v[10:11], v[16:17] op_sel_hi:[0,1]
	v_and_b32_e32 v11, 0x7f800000, v10
	v_cmp_ne_u32_e64 s[14:15], s58, v11
                                        ; implicit-def: $vgpr16
	s_and_saveexec_b64 s[44:45], s[14:15]
	s_xor_b64 s[14:15], exec, s[44:45]
; %bb.525:                              ;   in Loop: Header=BB6_500 Depth=2
	v_bfe_u32 v11, v10, 16, 1
	v_add3_u32 v16, v10, v11, s59
                                        ; implicit-def: $vgpr10_vgpr11
; %bb.526:                              ;   in Loop: Header=BB6_500 Depth=2
	s_andn2_saveexec_b64 s[44:45], s[14:15]
; %bb.527:                              ;   in Loop: Header=BB6_500 Depth=2
	v_or_b32_e32 v11, 0x10000, v10
	v_cmp_eq_u32_sdwa s[14:15], v10, v55 src0_sel:WORD_0 src1_sel:DWORD
	s_nop 1
	v_cndmask_b32_e64 v16, v11, v10, s[14:15]
; %bb.528:                              ;   in Loop: Header=BB6_500 Depth=2
	s_or_b64 exec, exec, s[44:45]
	v_and_b32_e32 v10, 0xffff0000, v13
	v_and_b32_e32 v48, 0xffff0000, v3
	v_pk_mul_f32 v[10:11], v[10:11], v[48:49] op_sel_hi:[0,1]
	v_and_b32_e32 v3, 0x7f800000, v10
	v_cmp_ne_u32_e64 s[14:15], s58, v3
                                        ; implicit-def: $vgpr3
	s_and_saveexec_b64 s[44:45], s[14:15]
	s_xor_b64 s[14:15], exec, s[44:45]
; %bb.529:                              ;   in Loop: Header=BB6_500 Depth=2
	v_bfe_u32 v3, v10, 16, 1
	v_add3_u32 v3, v10, v3, s59
                                        ; implicit-def: $vgpr10_vgpr11
; %bb.530:                              ;   in Loop: Header=BB6_500 Depth=2
	s_andn2_saveexec_b64 s[44:45], s[14:15]
	s_cbranch_execz .LBB6_499
; %bb.531:                              ;   in Loop: Header=BB6_500 Depth=2
	v_or_b32_e32 v3, 0x10000, v10
	v_cmp_eq_u32_sdwa s[14:15], v10, v55 src0_sel:WORD_0 src1_sel:DWORD
	s_nop 1
	v_cndmask_b32_e64 v3, v3, v10, s[14:15]
	s_branch .LBB6_499
.LBB6_532:                              ;   in Loop: Header=BB6_358 Depth=1
	s_or_b64 exec, exec, s[42:43]
.LBB6_533:                              ;   in Loop: Header=BB6_358 Depth=1
	s_or_b64 exec, exec, s[40:41]
	v_and_b32_e32 v11, 14, v47
	v_cndmask_b32_e32 v47, v32, v11, vcc
	v_cmp_ne_u32_e64 s[14:15], 0, v47
	s_mov_b64 s[40:41], 0
	v_mov_b32_e32 v3, 0
                                        ; implicit-def: $vgpr18
                                        ; implicit-def: $vgpr10
	s_and_saveexec_b64 s[42:43], s[14:15]
	s_cbranch_execz .LBB6_535
; %bb.534:                              ;   in Loop: Header=BB6_358 Depth=1
	v_sub_u32_e32 v3, v32, v11
	v_cndmask_b32_e32 v3, 0, v3, vcc
	v_cmp_lt_i32_e32 vcc, 0, v29
	s_mov_b64 s[40:41], exec
	v_add3_u32 v3, v28, v26, v3
	v_cndmask_b32_e32 v10, 0, v52, vcc
	v_sub_u32_e32 v10, v10, v29
	v_lshl_add_u32 v18, v10, 6, v27
	v_ashrrev_i32_e32 v10, 31, v18
	v_lshrrev_b32_e32 v10, 26, v10
	v_add_u32_e32 v10, v18, v10
	v_ashrrev_i32_e32 v10, 6, v10
.LBB6_535:                              ;   in Loop: Header=BB6_358 Depth=1
	s_or_b64 exec, exec, s[42:43]
	s_and_b64 s[40:41], s[40:41], exec
.LBB6_536:                              ;   in Loop: Header=BB6_358 Depth=1
	s_or_b64 exec, exec, s[38:39]
	s_and_saveexec_b64 s[14:15], s[40:41]
	s_cbranch_execz .LBB6_581
.LBB6_537:                              ;   in Loop: Header=BB6_358 Depth=1
	v_ashrrev_i32_e32 v11, 31, v47
	v_lshrrev_b32_e32 v11, 22, v11
	v_add_u32_e32 v11, v47, v11
	v_ashrrev_i32_e32 v21, 10, v11
	v_sub_u32_e32 v19, v21, v10
	v_ashrrev_i32_e32 v11, 31, v18
	v_cmp_lt_i32_e32 vcc, 0, v19
	v_lshrrev_b32_e32 v20, 26, v11
	s_and_saveexec_b64 s[38:39], vcc
	s_cbranch_execz .LBB6_573
; %bb.538:                              ;   in Loop: Header=BB6_358 Depth=1
	v_add_u32_e32 v11, v18, v20
	s_trap 2
	v_and_b32_e32 v11, 0x7fffffc0, v11
	ds_read_b128 v[12:15], v0
	ds_read_b64 v[16:17], v0
	v_sub_u32_e32 v11, v18, v11
	v_lshlrev_b32_e32 v11, 1, v11
	v_lshlrev_b32_e32 v10, 10, v10
	v_add3_u32 v22, v11, v3, v10
	v_ashrrev_i32_e32 v23, 31, v22
	s_waitcnt lgkmcnt(0)
	v_lshl_add_u64 v[10:11], v[12:13], 0, v[22:23]
	v_lshl_add_u64 v[12:13], v[14:15], 0, v[22:23]
	;; [unrolled: 1-line block ×4, first 2 shown]
	s_mov_b64 s[40:41], 0
	s_branch .LBB6_540
.LBB6_539:                              ;   in Loop: Header=BB6_540 Depth=2
	s_or_b64 exec, exec, s[42:43]
	v_add_co_u32_e32 v16, vcc, 0xfffffc80, v14
	v_sub_u32_e32 v19, v19, v52
	s_nop 0
	v_addc_co_u32_e32 v17, vcc, -1, v15, vcc
	flat_store_short_d16_hi v[16:17], v22 nt
	v_add_co_u32_e32 v16, vcc, 0xfffffd00, v14
	v_lshl_add_u64 v[10:11], v[10:11], 0, v[44:45]
	s_nop 0
	v_addc_co_u32_e32 v17, vcc, -1, v15, vcc
	flat_store_short_d16_hi v[16:17], v25 nt
	v_add_co_u32_e32 v16, vcc, 0xfffffd80, v14
	v_lshl_add_u64 v[12:13], v[12:13], 0, v[44:45]
	s_nop 0
	v_addc_co_u32_e32 v17, vcc, -1, v15, vcc
	flat_store_short_d16_hi v[16:17], v28 nt
	v_add_co_u32_e32 v16, vcc, 0xfffffe00, v14
	s_nop 1
	v_addc_co_u32_e32 v17, vcc, -1, v15, vcc
	flat_store_short_d16_hi v[16:17], v32 nt
	v_add_co_u32_e32 v16, vcc, 0xfffffe80, v14
	s_nop 1
	v_addc_co_u32_e32 v17, vcc, -1, v15, vcc
	flat_store_short_d16_hi v[16:17], v54 nt
	v_add_co_u32_e32 v16, vcc, 0xffffff00, v14
	s_nop 1
	v_addc_co_u32_e32 v17, vcc, -1, v15, vcc
	flat_store_short_d16_hi v[16:17], v29 nt
	v_add_co_u32_e32 v16, vcc, 0xffffff80, v14
	s_nop 1
	v_addc_co_u32_e32 v17, vcc, -1, v15, vcc
	v_cmp_gt_i32_e32 vcc, 1, v19
	flat_store_short_d16_hi v[16:17], v26 nt
	flat_store_short_d16_hi v[14:15], v23 nt
	s_or_b64 s[40:41], vcc, s[40:41]
	v_lshl_add_u64 v[14:15], v[14:15], 0, v[44:45]
	s_andn2_b64 exec, exec, s[40:41]
	s_cbranch_execz .LBB6_572
.LBB6_540:                              ;   Parent Loop BB6_358 Depth=1
                                        ; =>  This Inner Loop Header: Depth=2
	flat_load_ushort v28, v[10:11] offset:256 nt
	flat_load_ushort v32, v[10:11] offset:384 nt
	;; [unrolled: 1-line block ×12, first 2 shown]
	flat_load_ushort v16, v[12:13] nt
	flat_load_ushort v17, v[10:11] nt
	flat_load_ushort v25, v[10:11] offset:128 nt
	flat_load_ushort v60, v[12:13] offset:128 nt
	s_waitcnt vmcnt(0) lgkmcnt(0)
	v_lshlrev_b32_e32 v16, 16, v16
	v_lshlrev_b32_e32 v22, 16, v17
	v_pk_mul_f32 v[16:17], v[16:17], v[22:23] op_sel_hi:[0,1]
	v_and_b32_e32 v17, 0x7f800000, v16
	v_cmp_ne_u32_e32 vcc, s58, v17
                                        ; implicit-def: $vgpr22
	s_and_saveexec_b64 s[42:43], vcc
	s_xor_b64 vcc, exec, s[42:43]
; %bb.541:                              ;   in Loop: Header=BB6_540 Depth=2
	v_bfe_u32 v17, v16, 16, 1
	v_add3_u32 v22, v16, v17, s59
                                        ; implicit-def: $vgpr16_vgpr17
; %bb.542:                              ;   in Loop: Header=BB6_540 Depth=2
	s_andn2_saveexec_b64 s[42:43], vcc
; %bb.543:                              ;   in Loop: Header=BB6_540 Depth=2
	v_or_b32_e32 v17, 0x10000, v16
	v_cmp_eq_u32_sdwa vcc, v16, v55 src0_sel:WORD_0 src1_sel:DWORD
	s_nop 1
	v_cndmask_b32_e32 v22, v17, v16, vcc
; %bb.544:                              ;   in Loop: Header=BB6_540 Depth=2
	s_or_b64 exec, exec, s[42:43]
	v_lshlrev_b32_e32 v16, 16, v60
	v_lshlrev_b32_e32 v48, 16, v25
	v_pk_mul_f32 v[16:17], v[16:17], v[48:49] op_sel_hi:[0,1]
	v_and_b32_e32 v17, 0x7f800000, v16
	v_cmp_ne_u32_e32 vcc, s58, v17
                                        ; implicit-def: $vgpr25
	s_and_saveexec_b64 s[42:43], vcc
	s_xor_b64 vcc, exec, s[42:43]
; %bb.545:                              ;   in Loop: Header=BB6_540 Depth=2
	v_bfe_u32 v17, v16, 16, 1
	v_add3_u32 v25, v16, v17, s59
                                        ; implicit-def: $vgpr16_vgpr17
; %bb.546:                              ;   in Loop: Header=BB6_540 Depth=2
	s_andn2_saveexec_b64 s[42:43], vcc
; %bb.547:                              ;   in Loop: Header=BB6_540 Depth=2
	v_or_b32_e32 v17, 0x10000, v16
	v_cmp_eq_u32_sdwa vcc, v16, v55 src0_sel:WORD_0 src1_sel:DWORD
	s_nop 1
	v_cndmask_b32_e32 v25, v17, v16, vcc
; %bb.548:                              ;   in Loop: Header=BB6_540 Depth=2
	s_or_b64 exec, exec, s[42:43]
	v_lshlrev_b32_e32 v16, 16, v59
	v_lshlrev_b32_e32 v28, 16, v28
	v_pk_mul_f32 v[16:17], v[16:17], v[28:29] op_sel_hi:[0,1]
	v_and_b32_e32 v17, 0x7f800000, v16
	v_cmp_ne_u32_e32 vcc, s58, v17
                                        ; implicit-def: $vgpr28
	s_and_saveexec_b64 s[42:43], vcc
	s_xor_b64 vcc, exec, s[42:43]
; %bb.549:                              ;   in Loop: Header=BB6_540 Depth=2
	v_bfe_u32 v17, v16, 16, 1
	v_add3_u32 v28, v16, v17, s59
                                        ; implicit-def: $vgpr16_vgpr17
; %bb.550:                              ;   in Loop: Header=BB6_540 Depth=2
	s_andn2_saveexec_b64 s[42:43], vcc
; %bb.551:                              ;   in Loop: Header=BB6_540 Depth=2
	v_or_b32_e32 v17, 0x10000, v16
	v_cmp_eq_u32_sdwa vcc, v16, v55 src0_sel:WORD_0 src1_sel:DWORD
	s_nop 1
	v_cndmask_b32_e32 v28, v17, v16, vcc
; %bb.552:                              ;   in Loop: Header=BB6_540 Depth=2
	s_or_b64 exec, exec, s[42:43]
	v_lshlrev_b32_e32 v16, 16, v41
	v_lshlrev_b32_e32 v32, 16, v32
	v_pk_mul_f32 v[16:17], v[16:17], v[32:33] op_sel_hi:[0,1]
	v_and_b32_e32 v17, 0x7f800000, v16
	v_cmp_ne_u32_e32 vcc, s58, v17
                                        ; implicit-def: $vgpr32
	s_and_saveexec_b64 s[42:43], vcc
	s_xor_b64 vcc, exec, s[42:43]
; %bb.553:                              ;   in Loop: Header=BB6_540 Depth=2
	v_bfe_u32 v17, v16, 16, 1
	v_add3_u32 v32, v16, v17, s59
                                        ; implicit-def: $vgpr16_vgpr17
; %bb.554:                              ;   in Loop: Header=BB6_540 Depth=2
	s_andn2_saveexec_b64 s[42:43], vcc
; %bb.555:                              ;   in Loop: Header=BB6_540 Depth=2
	v_or_b32_e32 v17, 0x10000, v16
	v_cmp_eq_u32_sdwa vcc, v16, v55 src0_sel:WORD_0 src1_sel:DWORD
	s_nop 1
	v_cndmask_b32_e32 v32, v17, v16, vcc
; %bb.556:                              ;   in Loop: Header=BB6_540 Depth=2
	s_or_b64 exec, exec, s[42:43]
	v_lshlrev_b32_e32 v16, 16, v40
	v_lshlrev_b32_e32 v48, 16, v54
	v_pk_mul_f32 v[16:17], v[16:17], v[48:49] op_sel_hi:[0,1]
	v_and_b32_e32 v17, 0x7f800000, v16
	v_cmp_ne_u32_e32 vcc, s58, v17
                                        ; implicit-def: $vgpr54
	s_and_saveexec_b64 s[42:43], vcc
	s_xor_b64 vcc, exec, s[42:43]
; %bb.557:                              ;   in Loop: Header=BB6_540 Depth=2
	v_bfe_u32 v17, v16, 16, 1
	v_add3_u32 v54, v16, v17, s59
                                        ; implicit-def: $vgpr16_vgpr17
; %bb.558:                              ;   in Loop: Header=BB6_540 Depth=2
	s_andn2_saveexec_b64 s[42:43], vcc
; %bb.559:                              ;   in Loop: Header=BB6_540 Depth=2
	v_or_b32_e32 v17, 0x10000, v16
	v_cmp_eq_u32_sdwa vcc, v16, v55 src0_sel:WORD_0 src1_sel:DWORD
	s_nop 1
	v_cndmask_b32_e32 v54, v17, v16, vcc
; %bb.560:                              ;   in Loop: Header=BB6_540 Depth=2
	s_or_b64 exec, exec, s[42:43]
	v_lshlrev_b32_e32 v16, 16, v33
	v_lshlrev_b32_e32 v48, 16, v29
	v_pk_mul_f32 v[16:17], v[16:17], v[48:49] op_sel_hi:[0,1]
	v_and_b32_e32 v17, 0x7f800000, v16
	v_cmp_ne_u32_e32 vcc, s58, v17
                                        ; implicit-def: $vgpr29
	s_and_saveexec_b64 s[42:43], vcc
	s_xor_b64 vcc, exec, s[42:43]
; %bb.561:                              ;   in Loop: Header=BB6_540 Depth=2
	v_bfe_u32 v17, v16, 16, 1
	v_add3_u32 v29, v16, v17, s59
                                        ; implicit-def: $vgpr16_vgpr17
; %bb.562:                              ;   in Loop: Header=BB6_540 Depth=2
	s_andn2_saveexec_b64 s[42:43], vcc
; %bb.563:                              ;   in Loop: Header=BB6_540 Depth=2
	v_or_b32_e32 v17, 0x10000, v16
	v_cmp_eq_u32_sdwa vcc, v16, v55 src0_sel:WORD_0 src1_sel:DWORD
	s_nop 1
	v_cndmask_b32_e32 v29, v17, v16, vcc
; %bb.564:                              ;   in Loop: Header=BB6_540 Depth=2
	s_or_b64 exec, exec, s[42:43]
	v_lshlrev_b32_e32 v16, 16, v27
	v_lshlrev_b32_e32 v26, 16, v26
	v_pk_mul_f32 v[16:17], v[16:17], v[26:27] op_sel_hi:[0,1]
	v_and_b32_e32 v17, 0x7f800000, v16
	v_cmp_ne_u32_e32 vcc, s58, v17
                                        ; implicit-def: $vgpr26
	s_and_saveexec_b64 s[42:43], vcc
	s_xor_b64 vcc, exec, s[42:43]
; %bb.565:                              ;   in Loop: Header=BB6_540 Depth=2
	v_bfe_u32 v17, v16, 16, 1
	v_add3_u32 v26, v16, v17, s59
                                        ; implicit-def: $vgpr16_vgpr17
; %bb.566:                              ;   in Loop: Header=BB6_540 Depth=2
	s_andn2_saveexec_b64 s[42:43], vcc
; %bb.567:                              ;   in Loop: Header=BB6_540 Depth=2
	v_or_b32_e32 v17, 0x10000, v16
	v_cmp_eq_u32_sdwa vcc, v16, v55 src0_sel:WORD_0 src1_sel:DWORD
	s_nop 1
	v_cndmask_b32_e32 v26, v17, v16, vcc
; %bb.568:                              ;   in Loop: Header=BB6_540 Depth=2
	s_or_b64 exec, exec, s[42:43]
	v_lshlrev_b32_e32 v16, 16, v24
	v_lshlrev_b32_e32 v24, 16, v23
	v_pk_mul_f32 v[16:17], v[16:17], v[24:25] op_sel_hi:[0,1]
	v_and_b32_e32 v17, 0x7f800000, v16
	v_cmp_ne_u32_e32 vcc, s58, v17
                                        ; implicit-def: $vgpr23
	s_and_saveexec_b64 s[42:43], vcc
	s_xor_b64 vcc, exec, s[42:43]
; %bb.569:                              ;   in Loop: Header=BB6_540 Depth=2
	v_bfe_u32 v17, v16, 16, 1
	v_add3_u32 v23, v16, v17, s59
                                        ; implicit-def: $vgpr16_vgpr17
; %bb.570:                              ;   in Loop: Header=BB6_540 Depth=2
	s_andn2_saveexec_b64 s[42:43], vcc
	s_cbranch_execz .LBB6_539
; %bb.571:                              ;   in Loop: Header=BB6_540 Depth=2
	v_or_b32_e32 v17, 0x10000, v16
	v_cmp_eq_u32_sdwa vcc, v16, v55 src0_sel:WORD_0 src1_sel:DWORD
	s_nop 1
	v_cndmask_b32_e32 v23, v17, v16, vcc
	s_branch .LBB6_539
.LBB6_572:                              ;   in Loop: Header=BB6_358 Depth=1
	s_or_b64 exec, exec, s[40:41]
.LBB6_573:                              ;   in Loop: Header=BB6_358 Depth=1
	s_or_b64 exec, exec, s[38:39]
	v_lshlrev_b32_e32 v10, 10, v21
	v_cmp_ne_u32_e32 vcc, v47, v10
	s_and_b64 exec, exec, vcc
	s_cbranch_execz .LBB6_581
; %bb.574:                              ;   in Loop: Header=BB6_358 Depth=1
	v_add_u32_e32 v11, v18, v20
	v_and_b32_e32 v11, 0xffffffc0, v11
	v_sub_u32_e32 v11, v18, v11
	v_lshlrev_b32_e32 v12, 6, v19
	v_sub_u32_e32 v11, v11, v12
	v_ashrrev_i32_e32 v12, 31, v11
	v_lshrrev_b32_e32 v12, 26, v12
	v_add_u32_e32 v12, v11, v12
	v_and_b32_e32 v13, 0x7fffffc0, v12
	v_sub_u32_e32 v11, v11, v13
	v_lshlrev_b32_e32 v12, 1, v12
	v_and_b32_e32 v12, 0xffffff80, v12
	v_lshlrev_b32_e32 v11, 1, v11
	v_add3_u32 v10, v12, v11, v10
	v_sub_u32_e32 v18, v47, v10
	v_cmp_lt_i32_e32 vcc, 1, v18
	s_and_b64 exec, exec, vcc
	s_cbranch_execz .LBB6_581
; %bb.575:                              ;   in Loop: Header=BB6_358 Depth=1
	s_trap 2
	ds_read_b128 v[12:15], v0
	ds_read_b64 v[16:17], v0
	v_add_u32_e32 v20, v10, v3
	v_ashrrev_i32_e32 v21, 31, v20
	s_mov_b64 s[38:39], 0
	s_waitcnt lgkmcnt(0)
	v_lshl_add_u64 v[10:11], v[12:13], 0, v[20:21]
	v_lshl_add_u64 v[12:13], v[14:15], 0, v[20:21]
	;; [unrolled: 1-line block ×3, first 2 shown]
	s_branch .LBB6_577
.LBB6_576:                              ;   in Loop: Header=BB6_577 Depth=2
	s_or_b64 exec, exec, s[40:41]
	v_sub_u32_e32 v18, v18, v51
	v_cmp_gt_i32_e32 vcc, 2, v18
	flat_store_short_d16_hi v[14:15], v3 nt
	v_lshl_add_u64 v[10:11], v[10:11], 0, v[0:1]
	v_lshl_add_u64 v[12:13], v[12:13], 0, v[0:1]
	s_or_b64 s[38:39], vcc, s[38:39]
	v_lshl_add_u64 v[14:15], v[14:15], 0, v[0:1]
	s_andn2_b64 exec, exec, s[38:39]
	s_cbranch_execz .LBB6_581
.LBB6_577:                              ;   Parent Loop BB6_358 Depth=1
                                        ; =>  This Inner Loop Header: Depth=2
	flat_load_ushort v3, v[12:13] nt
	flat_load_ushort v17, v[10:11] nt
	s_waitcnt vmcnt(0) lgkmcnt(0)
	v_lshlrev_b32_e32 v16, 16, v3
	v_lshlrev_b32_e32 v20, 16, v17
	v_pk_mul_f32 v[16:17], v[16:17], v[20:21] op_sel_hi:[0,1]
	v_and_b32_e32 v3, 0x7f800000, v16
	v_cmp_ne_u32_e32 vcc, s58, v3
                                        ; implicit-def: $vgpr3
	s_and_saveexec_b64 s[40:41], vcc
	s_xor_b64 vcc, exec, s[40:41]
; %bb.578:                              ;   in Loop: Header=BB6_577 Depth=2
	v_bfe_u32 v3, v16, 16, 1
	v_add3_u32 v3, v16, v3, s59
                                        ; implicit-def: $vgpr16_vgpr17
; %bb.579:                              ;   in Loop: Header=BB6_577 Depth=2
	s_andn2_saveexec_b64 s[40:41], vcc
	s_cbranch_execz .LBB6_576
; %bb.580:                              ;   in Loop: Header=BB6_577 Depth=2
	v_or_b32_e32 v3, 0x10000, v16
	v_cmp_eq_u32_sdwa vcc, v16, v55 src0_sel:WORD_0 src1_sel:DWORD
	s_nop 1
	v_cndmask_b32_e32 v3, v3, v16, vcc
	s_branch .LBB6_576
.LBB6_581:                              ;   in Loop: Header=BB6_358 Depth=1
	s_or_b64 exec, exec, s[14:15]
	v_cmp_ne_u32_e64 s[14:15], 0, v2
.LBB6_582:                              ;   in Loop: Header=BB6_358 Depth=1
	s_and_saveexec_b64 s[38:39], s[4:5]
	s_cbranch_execz .LBB6_601
; %bb.583:                              ;   in Loop: Header=BB6_358 Depth=1
	s_and_saveexec_b64 vcc, s[24:25]
	s_xor_b64 s[40:41], exec, vcc
	s_cbranch_execz .LBB6_598
; %bb.584:                              ;   in Loop: Header=BB6_358 Depth=1
	s_and_saveexec_b64 s[42:43], s[6:7]
	s_cbranch_execz .LBB6_597
; %bb.585:                              ;   in Loop: Header=BB6_358 Depth=1
	s_mov_b64 s[46:47], exec
	v_mbcnt_lo_u32_b32 v2, s46, 0
	v_mbcnt_hi_u32_b32 v2, s47, v2
	v_cmp_eq_u32_e32 vcc, 0, v2
	s_waitcnt lgkmcnt(0)
	s_and_saveexec_b64 s[44:45], vcc
	s_cbranch_execz .LBB6_587
; %bb.586:                              ;   in Loop: Header=BB6_358 Depth=1
	s_bcnt1_i32_b64 vcc_lo, s[46:47]
	v_mov_b32_e32 v54, vcc_lo
	ds_add_u64 v0, v[54:55]
	s_trap 2
.LBB6_587:                              ;   in Loop: Header=BB6_358 Depth=1
	s_or_b64 exec, exec, s[44:45]
	s_trap 2
	ds_read_b64 v[2:3], v0
	v_accvgpr_read_b32 v10, a12
	v_accvgpr_read_b32 v11, a13
	v_lshl_add_u64 v[10:11], v[10:11], 0, v[52:53]
	v_accvgpr_write_b32 a13, v11
	v_accvgpr_write_b32 a12, v10
	s_waitcnt lgkmcnt(0)
	v_cmp_lt_u64_e32 vcc, v[2:3], v[10:11]
	s_and_saveexec_b64 s[44:45], vcc
	s_cbranch_execz .LBB6_596
; %bb.588:                              ;   in Loop: Header=BB6_358 Depth=1
	s_mov_b32 s62, 0
	s_mov_b64 s[46:47], 0
                                        ; implicit-def: $sgpr48_sgpr49
                                        ; implicit-def: $sgpr50_sgpr51
	s_branch .LBB6_590
.LBB6_589:                              ;   in Loop: Header=BB6_590 Depth=2
	s_or_b64 exec, exec, s[54:55]
	s_and_b64 vcc, exec, vcc
	s_or_b64 s[46:47], vcc, s[46:47]
	s_andn2_b64 vcc, s[48:49], exec
	s_and_b64 s[48:49], s[50:51], exec
	s_or_b64 s[48:49], vcc, s[48:49]
	s_andn2_b64 exec, exec, s[46:47]
	s_cbranch_execz .LBB6_594
.LBB6_590:                              ;   Parent Loop BB6_358 Depth=1
                                        ; =>  This Inner Loop Header: Depth=2
	s_add_i32 s62, s62, 1
	s_cmpk_lg_i32 s62, 0x2710
	s_cselect_b64 s[52:53], -1, 0
	s_and_b64 vcc, exec, s[52:53]
                                        ; implicit-def: $sgpr54_sgpr55
	s_cbranch_vccnz .LBB6_592
; %bb.591:                              ;   in Loop: Header=BB6_590 Depth=2
	s_trap 2
	ds_read_b64 v[2:3], v0
	s_andn2_b64 s[52:53], s[52:53], exec
	s_mov_b32 s62, 0
	s_mov_b64 s[54:55], -1
	s_waitcnt vmcnt(0) lgkmcnt(0)
	flat_load_dword v2, v[2:3] sc0 sc1
	s_waitcnt vmcnt(0) lgkmcnt(0)
	buffer_inv sc0 sc1
	v_cmp_eq_u32_e32 vcc, 0, v2
	s_and_b64 vcc, vcc, exec
	s_or_b64 s[52:53], s[52:53], vcc
.LBB6_592:                              ;   in Loop: Header=BB6_590 Depth=2
	s_andn2_b64 s[50:51], s[50:51], exec
	s_and_b64 s[54:55], s[54:55], exec
	s_mov_b64 vcc, -1
	s_or_b64 s[50:51], s[50:51], s[54:55]
	s_and_saveexec_b64 s[54:55], s[52:53]
	s_cbranch_execz .LBB6_589
; %bb.593:                              ;   in Loop: Header=BB6_590 Depth=2
	s_sleep 1
	s_trap 2
	ds_read_b64 v[2:3], v0
	v_accvgpr_read_b32 v10, a12
	v_accvgpr_read_b32 v11, a13
	s_andn2_b64 s[50:51], s[50:51], exec
	s_waitcnt lgkmcnt(0)
	v_cmp_ge_u64_e32 vcc, v[2:3], v[10:11]
	s_orn2_b64 vcc, vcc, exec
	s_branch .LBB6_589
.LBB6_594:                              ;   in Loop: Header=BB6_358 Depth=1
	s_or_b64 exec, exec, s[46:47]
	s_and_saveexec_b64 vcc, s[48:49]
	s_xor_b64 vcc, exec, vcc
	s_cbranch_execz .LBB6_596
; %bb.595:                              ;   in Loop: Header=BB6_358 Depth=1
	v_mov_b32_e32 v2, 1
	ds_write_b32 v0, v2
	s_trap 2
.LBB6_596:                              ;   in Loop: Header=BB6_358 Depth=1
	s_or_b64 exec, exec, s[44:45]
	;;#ASMSTART
	s_wakeup
	;;#ASMEND
.LBB6_597:                              ;   in Loop: Header=BB6_358 Depth=1
	s_or_b64 exec, exec, s[42:43]
.LBB6_598:                              ;   in Loop: Header=BB6_358 Depth=1
	s_andn2_saveexec_b64 vcc, s[40:41]
	s_cbranch_execz .LBB6_600
; %bb.599:                              ;   in Loop: Header=BB6_358 Depth=1
	s_waitcnt lgkmcnt(0)
	s_barrier
.LBB6_600:                              ;   in Loop: Header=BB6_358 Depth=1
	s_or_b64 exec, exec, vcc
.LBB6_601:                              ;   in Loop: Header=BB6_358 Depth=1
	s_or_b64 exec, exec, s[38:39]
	v_and_b32_e32 v2, 16, v62
	v_cmp_ne_u32_e32 vcc, 0, v2
	s_and_b64 vcc, vcc, s[14:15]
	s_and_saveexec_b64 s[14:15], vcc
	s_cbranch_execz .LBB6_603
; %bb.602:                              ;   in Loop: Header=BB6_358 Depth=1
	buffer_wbl2 sc1
	s_waitcnt vmcnt(0) lgkmcnt(0)
	buffer_inv sc1
.LBB6_603:                              ;   in Loop: Header=BB6_358 Depth=1
	s_or_b64 exec, exec, s[14:15]
	v_and_b32_e32 v2, 32, v62
	v_cmp_ne_u32_e32 vcc, 0, v2
	s_and_saveexec_b64 s[14:15], vcc
	s_cbranch_execz .LBB6_605
; %bb.604:                              ;   in Loop: Header=BB6_358 Depth=1
	v_lshl_add_u64 v[8:9], v[8:9], 0, 1
	flat_store_dwordx2 v[34:35], v[8:9] sc0 sc1
.LBB6_605:                              ;   in Loop: Header=BB6_358 Depth=1
	s_or_b64 exec, exec, s[14:15]
	v_mov_b32_e32 v14, v46
.LBB6_606:                              ;   in Loop: Header=BB6_358 Depth=1
	s_or_b64 exec, exec, s[36:37]
	s_and_saveexec_b64 s[36:37], s[34:35]
	s_cbranch_execz .LBB6_357
; %bb.607:                              ;   in Loop: Header=BB6_358 Depth=1
	v_and_b32_e32 v2, 4, v62
	v_cmp_ne_u32_e32 vcc, 0, v2
	s_mov_b64 s[34:35], -1
	v_lshl_add_u64 v[10:11], v[8:9], 0, 1
	s_and_saveexec_b64 s[14:15], vcc
	s_cbranch_execnz .LBB6_610
; %bb.608:                              ;   in Loop: Header=BB6_358 Depth=1
	s_or_b64 exec, exec, s[14:15]
	s_xor_b64 s[14:15], s[34:35], -1
	s_and_saveexec_b64 s[34:35], s[14:15]
	s_cbranch_execnz .LBB6_621
.LBB6_609:                              ;   in Loop: Header=BB6_358 Depth=1
	s_or_b64 exec, exec, s[34:35]
	s_and_saveexec_b64 s[14:15], s[4:5]
	s_cbranch_execnz .LBB6_630
	s_branch .LBB6_648
.LBB6_610:                              ;   in Loop: Header=BB6_358 Depth=1
	v_lshl_add_u64 v[12:13], v[8:9], 0, 1
	v_cmp_lt_u64_e32 vcc, v[38:39], v[12:13]
	v_mov_b32_e32 v2, 1
	s_and_saveexec_b64 s[34:35], vcc
	s_cbranch_execz .LBB6_620
; %bb.611:                              ;   in Loop: Header=BB6_358 Depth=1
	s_mov_b64 s[38:39], 0
	v_mov_b32_e32 v2, 0
                                        ; implicit-def: $sgpr40_sgpr41
	s_branch .LBB6_615
.LBB6_612:                              ;   in Loop: Header=BB6_615 Depth=2
	s_or_b64 exec, exec, s[48:49]
	v_mov_b32_e32 v3, 0
	s_orn2_b64 s[46:47], s[46:47], exec
.LBB6_613:                              ;   in Loop: Header=BB6_615 Depth=2
	s_or_b64 exec, exec, s[44:45]
	s_andn2_b64 vcc, s[40:41], exec
	s_and_b64 s[40:41], s[46:47], exec
	s_or_b64 s[40:41], vcc, s[40:41]
	v_mov_b32_e32 v2, v3
.LBB6_614:                              ;   in Loop: Header=BB6_615 Depth=2
	s_or_b64 exec, exec, s[42:43]
	s_waitcnt vmcnt(0) lgkmcnt(0)
	v_cmp_ge_u64_e32 vcc, v[38:39], v[12:13]
	s_xor_b64 s[42:43], s[40:41], -1
	s_or_b64 vcc, s[42:43], vcc
	s_and_b64 vcc, exec, vcc
	s_or_b64 s[38:39], vcc, s[38:39]
	s_andn2_b64 exec, exec, s[38:39]
	s_cbranch_execz .LBB6_619
.LBB6_615:                              ;   Parent Loop BB6_358 Depth=1
                                        ; =>  This Inner Loop Header: Depth=2
	s_sleep 1
	flat_load_dwordx2 v[38:39], v[34:35] sc0 sc1
	v_and_b32_e32 v3, 64, v62
	v_cmp_eq_u32_e32 vcc, 0, v3
	s_andn2_b64 s[40:41], s[40:41], exec
	s_and_saveexec_b64 s[42:43], vcc
	s_cbranch_execz .LBB6_614
; %bb.616:                              ;   in Loop: Header=BB6_615 Depth=2
	v_add_u32_e32 v3, 1, v2
	v_cmp_lt_i32_e32 vcc, s57, v2
	s_mov_b64 s[46:47], -1
	s_and_saveexec_b64 s[44:45], vcc
	s_cbranch_execz .LBB6_613
; %bb.617:                              ;   in Loop: Header=BB6_615 Depth=2
	s_trap 2
	ds_read_b64 v[2:3], v0
	s_waitcnt vmcnt(0) lgkmcnt(0)
	flat_load_dword v2, v[2:3] sc0 sc1
	s_waitcnt vmcnt(0) lgkmcnt(0)
	buffer_inv sc0 sc1
	v_cmp_ne_u32_e32 vcc, 0, v2
	s_and_saveexec_b64 s[48:49], vcc
	s_cbranch_execz .LBB6_612
; %bb.618:                              ;   in Loop: Header=BB6_615 Depth=2
	v_or_b32_e32 v62, 64, v62
	s_xor_b64 s[46:47], exec, -1
	ds_write_b32 v0, v2
	s_trap 2
	s_branch .LBB6_612
.LBB6_619:                              ;   in Loop: Header=BB6_358 Depth=1
	s_or_b64 exec, exec, s[38:39]
	v_and_b32_e32 v2, 4, v62
.LBB6_620:                              ;   in Loop: Header=BB6_358 Depth=1
	s_or_b64 exec, exec, s[34:35]
	v_cmp_eq_u32_e32 vcc, 0, v2
	s_orn2_b64 s[34:35], vcc, exec
	;;#ASMSTART
	s_wakeup
	;;#ASMEND
	s_or_b64 exec, exec, s[14:15]
	s_xor_b64 s[14:15], s[34:35], -1
	s_and_saveexec_b64 s[34:35], s[14:15]
	s_cbranch_execz .LBB6_609
.LBB6_621:                              ;   in Loop: Header=BB6_358 Depth=1
	v_and_b32_e32 v2, 0x100, v62
	v_cmp_ne_u32_e32 vcc, 0, v2
	v_and_b32_e32 v12, 7, v8
	s_mov_b64 s[14:15], -1
                                        ; implicit-def: $vgpr8_vgpr9
	s_and_saveexec_b64 s[38:39], vcc
	s_cbranch_execz .LBB6_625
; %bb.622:                              ;   in Loop: Header=BB6_358 Depth=1
	v_mad_u64_u32 v[2:3], s[14:15], v12, 24, v[6:7]
	flat_load_dword v8, v[2:3]
	s_waitcnt vmcnt(0) lgkmcnt(0)
	v_cmp_ne_u32_e32 vcc, 1, v8
	v_cmp_eq_u32_e64 s[14:15], 1, v8
                                        ; implicit-def: $vgpr8_vgpr9
	s_and_saveexec_b64 s[40:41], s[14:15]
	s_cbranch_execz .LBB6_624
; %bb.623:                              ;   in Loop: Header=BB6_358 Depth=1
	flat_load_dword v2, v[2:3] offset:4 sc0 sc1
	s_waitcnt vmcnt(0) lgkmcnt(0)
	v_ashrrev_i32_e32 v3, 31, v2
	v_lshrrev_b64 v[8:9], 1, v[2:3]
.LBB6_624:                              ;   in Loop: Header=BB6_358 Depth=1
	s_or_b64 exec, exec, s[40:41]
	s_orn2_b64 s[14:15], vcc, exec
.LBB6_625:                              ;   in Loop: Header=BB6_358 Depth=1
	s_or_b64 exec, exec, s[38:39]
	s_and_saveexec_b64 vcc, s[14:15]
; %bb.626:                              ;   in Loop: Header=BB6_358 Depth=1
	v_accvgpr_read_b32 v2, a8
	v_mad_i64_i32 v[8:9], s[14:15], v12, v2, 0
; %bb.627:                              ;   in Loop: Header=BB6_358 Depth=1
	s_or_b64 exec, exec, vcc
	v_accvgpr_read_b32 v2, a10
	v_accvgpr_read_b32 v3, a11
	v_lshl_add_u64 v[2:3], v[8:9], 1, v[2:3]
	ds_write_b64 v0, v[2:3] offset:728
	v_and_b32_e32 v2, 0x2000, v62
	v_cmp_ne_u32_e32 vcc, 0, v2
	s_and_saveexec_b64 s[14:15], vcc
	s_cbranch_execz .LBB6_629
; %bb.628:                              ;   in Loop: Header=BB6_358 Depth=1
	ds_read_b64 v[2:3], v0 offset:584
	s_waitcnt lgkmcnt(0)
	v_lshl_add_u64 v[2:3], v[2:3], 0, 1
	ds_write_b64 v0, v[2:3] offset:584
.LBB6_629:                              ;   in Loop: Header=BB6_358 Depth=1
	s_or_b64 exec, exec, s[14:15]
	v_mov_b64_e32 v[8:9], v[10:11]
	s_or_b64 exec, exec, s[34:35]
	s_and_saveexec_b64 s[14:15], s[4:5]
	s_cbranch_execz .LBB6_648
.LBB6_630:                              ;   in Loop: Header=BB6_358 Depth=1
	s_and_saveexec_b64 vcc, s[24:25]
	s_xor_b64 s[34:35], exec, vcc
	s_cbranch_execz .LBB6_645
; %bb.631:                              ;   in Loop: Header=BB6_358 Depth=1
	s_and_saveexec_b64 s[38:39], s[6:7]
	s_cbranch_execz .LBB6_644
; %bb.632:                              ;   in Loop: Header=BB6_358 Depth=1
	s_mov_b64 s[42:43], exec
	v_mbcnt_lo_u32_b32 v2, s42, 0
	v_mbcnt_hi_u32_b32 v2, s43, v2
	v_cmp_eq_u32_e32 vcc, 0, v2
	s_waitcnt lgkmcnt(0)
	s_and_saveexec_b64 s[40:41], vcc
	s_cbranch_execz .LBB6_634
; %bb.633:                              ;   in Loop: Header=BB6_358 Depth=1
	s_bcnt1_i32_b64 vcc_lo, s[42:43]
	v_mov_b32_e32 v54, vcc_lo
	ds_add_u64 v0, v[54:55]
	s_trap 2
.LBB6_634:                              ;   in Loop: Header=BB6_358 Depth=1
	s_or_b64 exec, exec, s[40:41]
	s_trap 2
	ds_read_b64 v[2:3], v0
	v_accvgpr_read_b32 v10, a12
	v_accvgpr_read_b32 v11, a13
	v_lshl_add_u64 v[10:11], v[10:11], 0, v[52:53]
	v_accvgpr_write_b32 a13, v11
	v_accvgpr_write_b32 a12, v10
	s_waitcnt lgkmcnt(0)
	v_cmp_lt_u64_e32 vcc, v[2:3], v[10:11]
	s_and_saveexec_b64 s[40:41], vcc
	s_cbranch_execz .LBB6_643
; %bb.635:                              ;   in Loop: Header=BB6_358 Depth=1
	s_mov_b32 s52, 0
	s_mov_b64 s[42:43], 0
                                        ; implicit-def: $sgpr44_sgpr45
                                        ; implicit-def: $sgpr46_sgpr47
	s_branch .LBB6_637
.LBB6_636:                              ;   in Loop: Header=BB6_637 Depth=2
	s_or_b64 exec, exec, s[50:51]
	s_and_b64 vcc, exec, vcc
	s_or_b64 s[42:43], vcc, s[42:43]
	s_andn2_b64 vcc, s[44:45], exec
	s_and_b64 s[44:45], s[46:47], exec
	s_or_b64 s[44:45], vcc, s[44:45]
	s_andn2_b64 exec, exec, s[42:43]
	s_cbranch_execz .LBB6_641
.LBB6_637:                              ;   Parent Loop BB6_358 Depth=1
                                        ; =>  This Inner Loop Header: Depth=2
	s_add_i32 s52, s52, 1
	s_cmpk_lg_i32 s52, 0x2710
	s_cselect_b64 s[48:49], -1, 0
	s_and_b64 vcc, exec, s[48:49]
                                        ; implicit-def: $sgpr50_sgpr51
	s_cbranch_vccnz .LBB6_639
; %bb.638:                              ;   in Loop: Header=BB6_637 Depth=2
	s_trap 2
	ds_read_b64 v[2:3], v0
	s_andn2_b64 s[48:49], s[48:49], exec
	s_mov_b32 s52, 0
	s_mov_b64 s[50:51], -1
	s_waitcnt vmcnt(0) lgkmcnt(0)
	flat_load_dword v2, v[2:3] sc0 sc1
	s_waitcnt vmcnt(0) lgkmcnt(0)
	buffer_inv sc0 sc1
	v_cmp_eq_u32_e32 vcc, 0, v2
	s_and_b64 vcc, vcc, exec
	s_or_b64 s[48:49], s[48:49], vcc
.LBB6_639:                              ;   in Loop: Header=BB6_637 Depth=2
	s_andn2_b64 s[46:47], s[46:47], exec
	s_and_b64 s[50:51], s[50:51], exec
	s_mov_b64 vcc, -1
	s_or_b64 s[46:47], s[46:47], s[50:51]
	s_and_saveexec_b64 s[50:51], s[48:49]
	s_cbranch_execz .LBB6_636
; %bb.640:                              ;   in Loop: Header=BB6_637 Depth=2
	s_sleep 1
	s_trap 2
	ds_read_b64 v[2:3], v0
	v_accvgpr_read_b32 v10, a12
	v_accvgpr_read_b32 v11, a13
	s_andn2_b64 s[46:47], s[46:47], exec
	s_waitcnt lgkmcnt(0)
	v_cmp_ge_u64_e32 vcc, v[2:3], v[10:11]
	s_orn2_b64 vcc, vcc, exec
	s_branch .LBB6_636
.LBB6_641:                              ;   in Loop: Header=BB6_358 Depth=1
	s_or_b64 exec, exec, s[42:43]
	s_and_saveexec_b64 vcc, s[44:45]
	s_xor_b64 vcc, exec, vcc
	s_cbranch_execz .LBB6_643
; %bb.642:                              ;   in Loop: Header=BB6_358 Depth=1
	v_mov_b32_e32 v2, 1
	ds_write_b32 v0, v2
	s_trap 2
.LBB6_643:                              ;   in Loop: Header=BB6_358 Depth=1
	s_or_b64 exec, exec, s[40:41]
	;;#ASMSTART
	s_wakeup
	;;#ASMEND
.LBB6_644:                              ;   in Loop: Header=BB6_358 Depth=1
	s_or_b64 exec, exec, s[38:39]
.LBB6_645:                              ;   in Loop: Header=BB6_358 Depth=1
	s_andn2_saveexec_b64 vcc, s[34:35]
	s_cbranch_execz .LBB6_647
; %bb.646:                              ;   in Loop: Header=BB6_358 Depth=1
	s_waitcnt lgkmcnt(0)
	s_barrier
.LBB6_647:                              ;   in Loop: Header=BB6_358 Depth=1
	s_or_b64 exec, exec, vcc
.LBB6_648:                              ;   in Loop: Header=BB6_358 Depth=1
	s_or_b64 exec, exec, s[14:15]
	s_trap 2
	ds_read_b32 v2, v0
	v_sub_u32_e32 v3, v58, v14
	v_min_i32_e32 v3, v46, v3
	v_cmp_lt_i32_e32 vcc, 0, v3
	s_waitcnt lgkmcnt(0)
	v_readfirstlane_b32 s14, v2
	s_cmp_eq_u32 s14, 0
	s_cselect_b64 s[14:15], -1, 0
	v_and_b32_e32 v2, 16, v62
	s_and_b64 s[14:15], vcc, s[14:15]
	v_cmp_ne_u32_e32 vcc, 0, v2
	s_and_b64 vcc, vcc, s[14:15]
	s_and_saveexec_b64 s[14:15], vcc
	s_cbranch_execz .LBB6_650
; %bb.649:                              ;   in Loop: Header=BB6_358 Depth=1
	buffer_wbl2 sc1
	s_waitcnt vmcnt(0)
	buffer_inv sc1
.LBB6_650:                              ;   in Loop: Header=BB6_358 Depth=1
	s_or_b64 exec, exec, s[14:15]
	v_and_b32_e32 v2, 32, v62
	v_cmp_ne_u32_e32 vcc, 0, v2
	s_and_saveexec_b64 s[14:15], vcc
	s_cbranch_execz .LBB6_356
; %bb.651:                              ;   in Loop: Header=BB6_358 Depth=1
	v_lshl_add_u64 v[8:9], v[8:9], 0, 1
	flat_store_dwordx2 v[34:35], v[8:9] sc0 sc1
	s_branch .LBB6_356
.LBB6_652:
	s_or_b64 exec, exec, s[26:27]
	v_accvgpr_read_b32 v27, a7
	v_accvgpr_read_b32 v59, a13
	;; [unrolled: 1-line block ×3, first 2 shown]
	v_mov_b32_e32 v31, v30
	v_accvgpr_read_b32 v19, a1
	v_accvgpr_read_b32 v26, a6
	;; [unrolled: 1-line block ×3, first 2 shown]
.LBB6_653:
	s_or_b64 exec, exec, s[18:19]
.LBB6_654:
	s_or_b64 exec, exec, s[16:17]
                                        ; implicit-def: $vgpr56_vgpr57
                                        ; implicit-def: $vgpr4_vgpr5
                                        ; implicit-def: $agpr14_agpr15
                                        ; implicit-def: $agpr8
                                        ; implicit-def: $vgpr38_vgpr39
                                        ; implicit-def: $agpr10_agpr11
                                        ; implicit-def: $vgpr34_vgpr35
                                        ; implicit-def: $vgpr45
                                        ; implicit-def: $vgpr15
                                        ; implicit-def: $vgpr36_vgpr37
.LBB6_655:
	s_andn2_saveexec_b64 s[18:19], s[22:23]
	s_cbranch_execz .LBB6_828
; %bb.656:
	s_mov_b64 s[24:25], 0
	v_cmp_ne_u64_e32 vcc, 0, v[4:5]
	v_mov_b64_e32 v[58:59], 0
	s_and_saveexec_b64 s[22:23], vcc
	s_cbranch_execz .LBB6_827
; %bb.657:
	v_and_b32_e32 v0, 63, v31
	v_cmp_eq_u32_e64 s[6:7], 0, v0
	v_ashrrev_i32_e32 v0, 31, v45
	v_lshrrev_b32_e32 v0, 26, v0
	v_add_u32_e32 v0, v45, v0
	v_and_b32_e32 v1, 0xffffffc0, v0
	v_ashrrev_i32_e32 v60, 6, v0
	v_sub_u32_e32 v61, v45, v1
	v_lshlrev_b32_e32 v0, 12, v60
	v_lshrrev_b32_e32 v10, 6, v25
	v_lshl_add_u32 v14, v61, 4, v0
	v_mov_b32_e32 v0, 0xfffff000
	v_lshl_add_u32 v0, v10, 12, v0
	v_ashrrev_i32_e32 v1, 31, v0
	s_mov_b64 s[14:15], 0x1000
	v_lshlrev_b32_e32 v40, 10, v10
	v_lshl_add_u64 v[16:17], v[0:1], 0, s[14:15]
	v_add_u32_e32 v0, 0xfffffc00, v40
	v_ashrrev_i32_e32 v1, 31, v0
	s_mov_b64 s[14:15], 0x400
	v_lshlrev_b32_e32 v41, 7, v10
	v_accvgpr_write_b32 a1, v19
	v_cmp_ne_u32_sdwa s[26:27], v19, v25 src0_sel:WORD_0 src1_sel:DWORD
	v_lshl_add_u64 v[18:19], v[0:1], 0, s[14:15]
	v_add_u32_e32 v0, 0xffffff80, v41
	v_ashrrev_i32_e32 v1, 31, v0
	s_mov_b64 s[14:15], 0x80
	s_lshr_b32 s2, s60, 27
	v_lshl_add_u64 v[20:21], v[0:1], 0, s[14:15]
	s_waitcnt lgkmcnt(0)
	v_accvgpr_read_b32 v0, a14
	v_accvgpr_write_b32 a6, v26
	s_add_i32 s60, s60, s2
	v_cmp_eq_u32_e32 vcc, 64, v25
	v_mov_b32_e32 v13, 0
	v_accvgpr_read_b32 v1, a15
	v_mov_b64_e32 v[22:23], 0
	v_accvgpr_write_b32 a7, v27
	s_ashr_i32 s54, s60, 5
	v_cmp_ge_i32_e64 s[2:3], v45, v25
	v_cmp_ne_u32_e64 s[4:5], 64, v25
	v_mov_b32_e32 v30, v31
	v_accvgpr_write_b32 a0, v25
	v_mov_b32_e32 v11, v13
	v_cmp_gt_i32_e64 s[10:11], 1, v61
	v_cmp_lt_i32_e64 s[12:13], v61, v15
	v_ashrrev_i32_e32 v15, 31, v14
	v_cmp_ne_u64_e64 s[14:15], 0, v[0:1]
	s_movk_i32 s55, 0x270e
	v_mov_b32_e32 v42, 1
	s_xor_b64 s[28:29], vcc, -1
	v_mov_b64_e32 v[58:59], v[22:23]
	v_mov_b32_e32 v31, v45
	s_trap 2
	s_branch .LBB6_661
.LBB6_658:                              ;   in Loop: Header=BB6_661 Depth=1
	s_or_b64 exec, exec, vcc
	v_lshl_add_u64 v[8:9], v[8:9], 0, 1
	flat_store_dwordx2 v[34:35], v[8:9] sc0 sc1
.LBB6_659:                              ;   in Loop: Header=BB6_661 Depth=1
	s_or_b64 exec, exec, s[16:17]
.LBB6_660:                              ;   in Loop: Header=BB6_661 Depth=1
	s_or_b64 exec, exec, s[34:35]
	v_lshl_add_u64 v[22:23], v[22:23], 0, v[36:37]
	v_cmp_ge_u64_e32 vcc, v[22:23], v[4:5]
	s_or_b64 s[24:25], vcc, s[24:25]
	s_andn2_b64 exec, exec, s[24:25]
	s_cbranch_execz .LBB6_826
.LBB6_661:                              ; =>This Loop Header: Depth=1
                                        ;     Child Loop BB6_670 Depth 2
                                        ;     Child Loop BB6_694 Depth 2
	;; [unrolled: 1-line block ×10, first 2 shown]
	v_sub_co_u32_e32 v0, vcc, v4, v22
	v_mov_b32_e32 v2, 0
	s_nop 0
	v_subb_co_u32_e32 v1, vcc, v5, v23, vcc
	v_cmp_lt_u64_e32 vcc, v[36:37], v[0:1]
	s_nop 1
	v_cndmask_b32_e64 v25, v1, 0, vcc
	v_cndmask_b32_e32 v24, v0, v36, vcc
	v_add_u32_e32 v0, 15, v24
	v_cmp_eq_u64_e32 vcc, 0, v[24:25]
	v_and_b32_e32 v0, 0x3ffffff0, v0
	s_or_b64 s[30:31], s[2:3], vcc
	v_max_i32_e32 v43, s54, v0
	s_xor_b64 s[16:17], s[30:31], -1
	s_and_saveexec_b64 s[34:35], s[16:17]
	s_cbranch_execz .LBB6_779
; %bb.662:                              ;   in Loop: Header=BB6_661 Depth=1
	s_and_saveexec_b64 s[16:17], s[0:1]
	s_cbranch_execz .LBB6_664
; %bb.663:                              ;   in Loop: Header=BB6_661 Depth=1
	s_trap 2
	ds_read_b64 v[0:1], v0
	v_mov_b32_e32 v12, v13
	s_waitcnt lgkmcnt(0)
	v_lshl_add_u64 v[0:1], v[56:57], 1, v[0:1]
	v_lshl_add_u64 v[0:1], v[22:23], 1, v[0:1]
	ds_write_b64 v0, v[0:1]
	ds_write_b64 v0, v[12:13]
.LBB6_664:                              ;   in Loop: Header=BB6_661 Depth=1
	s_or_b64 exec, exec, s[16:17]
	v_and_b32_e32 v0, 8, v62
	v_cmp_ne_u32_e32 vcc, 0, v0
	s_mov_b64 s[36:37], -1
	v_lshl_add_u64 v[28:29], v[8:9], 0, 1
	s_and_saveexec_b64 s[16:17], vcc
	s_cbranch_execz .LBB6_676
; %bb.665:                              ;   in Loop: Header=BB6_661 Depth=1
	v_lshl_add_u64 v[0:1], v[38:39], 0, 8
	v_lshl_add_u64 v[32:33], v[8:9], 0, 1
	v_cmp_lt_u64_e32 vcc, v[0:1], v[32:33]
	v_mov_b32_e32 v2, 1
	s_and_saveexec_b64 s[36:37], vcc
	s_cbranch_execz .LBB6_675
; %bb.666:                              ;   in Loop: Header=BB6_661 Depth=1
	s_mov_b64 s[38:39], 0
	v_mov_b32_e32 v2, 0
                                        ; implicit-def: $sgpr40_sgpr41
	s_branch .LBB6_670
.LBB6_667:                              ;   in Loop: Header=BB6_670 Depth=2
	s_or_b64 exec, exec, s[48:49]
	v_mov_b32_e32 v3, 0
	s_orn2_b64 s[46:47], s[46:47], exec
.LBB6_668:                              ;   in Loop: Header=BB6_670 Depth=2
	s_or_b64 exec, exec, s[44:45]
	s_andn2_b64 vcc, s[40:41], exec
	s_and_b64 s[40:41], s[46:47], exec
	s_or_b64 s[40:41], vcc, s[40:41]
	v_mov_b32_e32 v2, v3
.LBB6_669:                              ;   in Loop: Header=BB6_670 Depth=2
	s_or_b64 exec, exec, s[42:43]
	s_waitcnt vmcnt(0) lgkmcnt(0)
	v_lshl_add_u64 v[0:1], v[38:39], 0, 8
	v_cmp_ge_u64_e32 vcc, v[0:1], v[32:33]
	s_xor_b64 s[42:43], s[40:41], -1
	s_or_b64 vcc, s[42:43], vcc
	s_and_b64 vcc, exec, vcc
	s_or_b64 s[38:39], vcc, s[38:39]
	s_andn2_b64 exec, exec, s[38:39]
	s_cbranch_execz .LBB6_674
.LBB6_670:                              ;   Parent Loop BB6_661 Depth=1
                                        ; =>  This Inner Loop Header: Depth=2
	s_sleep 1
	flat_load_dwordx2 v[38:39], v[34:35] sc0 sc1
	v_and_b32_e32 v0, 64, v62
	v_cmp_eq_u32_e32 vcc, 0, v0
	s_andn2_b64 s[40:41], s[40:41], exec
	s_and_saveexec_b64 s[42:43], vcc
	s_cbranch_execz .LBB6_669
; %bb.671:                              ;   in Loop: Header=BB6_670 Depth=2
	v_add_u32_e32 v3, 1, v2
	v_cmp_lt_i32_e32 vcc, s55, v2
	s_mov_b64 s[46:47], -1
	s_and_saveexec_b64 s[44:45], vcc
	s_cbranch_execz .LBB6_668
; %bb.672:                              ;   in Loop: Header=BB6_670 Depth=2
	s_trap 2
	ds_read_b64 v[0:1], v0
	s_waitcnt vmcnt(0) lgkmcnt(0)
	flat_load_dword v2, v[0:1] sc0 sc1
	s_waitcnt vmcnt(0) lgkmcnt(0)
	buffer_inv sc0 sc1
	v_cmp_ne_u32_e32 vcc, 0, v2
	s_and_saveexec_b64 s[48:49], vcc
	s_cbranch_execz .LBB6_667
; %bb.673:                              ;   in Loop: Header=BB6_670 Depth=2
	v_or_b32_e32 v62, 64, v62
	s_xor_b64 s[46:47], exec, -1
	ds_write_b32 v0, v2
	s_trap 2
	s_branch .LBB6_667
.LBB6_674:                              ;   in Loop: Header=BB6_661 Depth=1
	s_or_b64 exec, exec, s[38:39]
	v_and_b32_e32 v2, 8, v62
.LBB6_675:                              ;   in Loop: Header=BB6_661 Depth=1
	s_or_b64 exec, exec, s[36:37]
	v_cmp_eq_u32_e32 vcc, 0, v2
	s_orn2_b64 s[36:37], vcc, exec
	;;#ASMSTART
	s_wakeup
	;;#ASMEND
.LBB6_676:                              ;   in Loop: Header=BB6_661 Depth=1
	s_or_b64 exec, exec, s[16:17]
	s_xor_b64 s[16:17], s[36:37], -1
	v_min_u32_e32 v43, v43, v24
	s_and_saveexec_b64 s[36:37], s[16:17]
	s_cbranch_execz .LBB6_686
; %bb.677:                              ;   in Loop: Header=BB6_661 Depth=1
	v_and_b32_e32 v0, 0x100, v62
	v_cmp_ne_u32_e32 vcc, 0, v0
	v_and_b32_e32 v25, 7, v8
	s_mov_b64 s[16:17], -1
                                        ; implicit-def: $vgpr8_vgpr9
	s_and_saveexec_b64 s[38:39], vcc
	s_cbranch_execz .LBB6_681
; %bb.678:                              ;   in Loop: Header=BB6_661 Depth=1
	v_mad_u64_u32 v[2:3], s[16:17], v25, 24, v[6:7]
	flat_load_dword v0, v[2:3]
	v_lshlrev_b32_e32 v12, 1, v43
	flat_store_dwordx2 v[2:3], v[12:13] offset:8
                                        ; implicit-def: $vgpr8_vgpr9
	s_waitcnt vmcnt(0) lgkmcnt(0)
	v_cmp_ne_u32_e32 vcc, 1, v0
	v_cmp_eq_u32_e64 s[16:17], 1, v0
	s_and_saveexec_b64 s[40:41], s[16:17]
	s_cbranch_execz .LBB6_680
; %bb.679:                              ;   in Loop: Header=BB6_661 Depth=1
	flat_load_dword v0, v[2:3] offset:4 sc0 sc1
	s_waitcnt vmcnt(0) lgkmcnt(0)
	v_ashrrev_i32_e32 v1, 31, v0
	v_lshrrev_b64 v[8:9], 1, v[0:1]
.LBB6_680:                              ;   in Loop: Header=BB6_661 Depth=1
	s_or_b64 exec, exec, s[40:41]
	s_orn2_b64 s[16:17], vcc, exec
.LBB6_681:                              ;   in Loop: Header=BB6_661 Depth=1
	s_or_b64 exec, exec, s[38:39]
	s_and_saveexec_b64 vcc, s[16:17]
; %bb.682:                              ;   in Loop: Header=BB6_661 Depth=1
	v_accvgpr_read_b32 v0, a8
	v_mad_i64_i32 v[8:9], s[16:17], v25, v0, 0
; %bb.683:                              ;   in Loop: Header=BB6_661 Depth=1
	s_or_b64 exec, exec, vcc
	v_accvgpr_read_b32 v0, a10
	v_accvgpr_read_b32 v1, a11
	v_lshl_add_u64 v[0:1], v[8:9], 1, v[0:1]
	ds_write_b64 v0, v[0:1] offset:784
	v_and_b32_e32 v0, 0x2000, v62
	v_cmp_ne_u32_e32 vcc, 0, v0
	s_and_saveexec_b64 s[16:17], vcc
	s_cbranch_execz .LBB6_685
; %bb.684:                              ;   in Loop: Header=BB6_661 Depth=1
	ds_read_b64 v[0:1], v0 offset:584
	s_waitcnt lgkmcnt(0)
	v_lshl_add_u64 v[0:1], v[0:1], 0, 1
	ds_write_b64 v0, v[0:1] offset:584
.LBB6_685:                              ;   in Loop: Header=BB6_661 Depth=1
	s_or_b64 exec, exec, s[16:17]
	v_mov_b64_e32 v[8:9], v[28:29]
.LBB6_686:                              ;   in Loop: Header=BB6_661 Depth=1
	s_or_b64 exec, exec, s[36:37]
	s_and_saveexec_b64 s[16:17], s[4:5]
	s_cbranch_execz .LBB6_705
; %bb.687:                              ;   in Loop: Header=BB6_661 Depth=1
	s_and_saveexec_b64 vcc, s[26:27]
	s_xor_b64 s[36:37], exec, vcc
	s_cbranch_execz .LBB6_702
; %bb.688:                              ;   in Loop: Header=BB6_661 Depth=1
	s_and_saveexec_b64 s[38:39], s[6:7]
	s_cbranch_execz .LBB6_701
; %bb.689:                              ;   in Loop: Header=BB6_661 Depth=1
	s_mov_b64 s[42:43], exec
	v_mbcnt_lo_u32_b32 v0, s42, 0
	v_mbcnt_hi_u32_b32 v0, s43, v0
	v_cmp_eq_u32_e32 vcc, 0, v0
	s_waitcnt lgkmcnt(0)
	s_and_saveexec_b64 s[40:41], vcc
	s_cbranch_execz .LBB6_691
; %bb.690:                              ;   in Loop: Header=BB6_661 Depth=1
	s_bcnt1_i32_b64 vcc_lo, s[42:43]
	v_mov_b32_e32 v12, vcc_lo
	ds_add_u64 v0, v[12:13]
	s_trap 2
.LBB6_691:                              ;   in Loop: Header=BB6_661 Depth=1
	s_or_b64 exec, exec, s[40:41]
	s_trap 2
	ds_read_b64 v[0:1], v0
	v_lshl_add_u64 v[58:59], v[58:59], 0, v[10:11]
	s_waitcnt lgkmcnt(0)
	v_cmp_lt_u64_e32 vcc, v[0:1], v[58:59]
	s_and_saveexec_b64 s[40:41], vcc
	s_cbranch_execz .LBB6_700
; %bb.692:                              ;   in Loop: Header=BB6_661 Depth=1
	s_mov_b32 s52, 0
	s_mov_b64 s[42:43], 0
                                        ; implicit-def: $sgpr44_sgpr45
                                        ; implicit-def: $sgpr46_sgpr47
	s_branch .LBB6_694
.LBB6_693:                              ;   in Loop: Header=BB6_694 Depth=2
	s_or_b64 exec, exec, s[50:51]
	s_and_b64 vcc, exec, vcc
	s_or_b64 s[42:43], vcc, s[42:43]
	s_andn2_b64 vcc, s[44:45], exec
	s_and_b64 s[44:45], s[46:47], exec
	s_or_b64 s[44:45], vcc, s[44:45]
	s_andn2_b64 exec, exec, s[42:43]
	s_cbranch_execz .LBB6_698
.LBB6_694:                              ;   Parent Loop BB6_661 Depth=1
                                        ; =>  This Inner Loop Header: Depth=2
	s_add_i32 s52, s52, 1
	s_cmpk_lg_i32 s52, 0x2710
	s_cselect_b64 s[48:49], -1, 0
	s_and_b64 vcc, exec, s[48:49]
                                        ; implicit-def: $sgpr50_sgpr51
	s_cbranch_vccnz .LBB6_696
; %bb.695:                              ;   in Loop: Header=BB6_694 Depth=2
	s_trap 2
	ds_read_b64 v[0:1], v0
	s_andn2_b64 s[48:49], s[48:49], exec
	s_mov_b32 s52, 0
	s_mov_b64 s[50:51], -1
	s_waitcnt vmcnt(0) lgkmcnt(0)
	flat_load_dword v0, v[0:1] sc0 sc1
	s_waitcnt vmcnt(0) lgkmcnt(0)
	buffer_inv sc0 sc1
	v_cmp_eq_u32_e32 vcc, 0, v0
	s_and_b64 vcc, vcc, exec
	s_or_b64 s[48:49], s[48:49], vcc
.LBB6_696:                              ;   in Loop: Header=BB6_694 Depth=2
	s_andn2_b64 s[46:47], s[46:47], exec
	s_and_b64 s[50:51], s[50:51], exec
	s_mov_b64 vcc, -1
	s_or_b64 s[46:47], s[46:47], s[50:51]
	s_and_saveexec_b64 s[50:51], s[48:49]
	s_cbranch_execz .LBB6_693
; %bb.697:                              ;   in Loop: Header=BB6_694 Depth=2
	s_sleep 1
	s_trap 2
	ds_read_b64 v[0:1], v0
	s_andn2_b64 s[46:47], s[46:47], exec
	s_waitcnt lgkmcnt(0)
	v_cmp_ge_u64_e32 vcc, v[0:1], v[58:59]
	s_orn2_b64 vcc, vcc, exec
	s_branch .LBB6_693
.LBB6_698:                              ;   in Loop: Header=BB6_661 Depth=1
	s_or_b64 exec, exec, s[42:43]
	s_and_saveexec_b64 vcc, s[44:45]
	s_xor_b64 vcc, exec, vcc
	s_cbranch_execz .LBB6_700
; %bb.699:                              ;   in Loop: Header=BB6_661 Depth=1
	ds_write_b32 v0, v42
	s_trap 2
.LBB6_700:                              ;   in Loop: Header=BB6_661 Depth=1
	s_or_b64 exec, exec, s[40:41]
	;;#ASMSTART
	s_wakeup
	;;#ASMEND
.LBB6_701:                              ;   in Loop: Header=BB6_661 Depth=1
	s_or_b64 exec, exec, s[38:39]
.LBB6_702:                              ;   in Loop: Header=BB6_661 Depth=1
	s_andn2_saveexec_b64 vcc, s[36:37]
	s_cbranch_execz .LBB6_704
; %bb.703:                              ;   in Loop: Header=BB6_661 Depth=1
	s_waitcnt lgkmcnt(0)
	s_barrier
.LBB6_704:                              ;   in Loop: Header=BB6_661 Depth=1
	s_or_b64 exec, exec, vcc
.LBB6_705:                              ;   in Loop: Header=BB6_661 Depth=1
	s_or_b64 exec, exec, s[16:17]
	s_trap 2
	ds_read_b32 v2, v0
	v_and_b32_e32 v0, 0x4000, v62
	v_cmp_ne_u32_e32 vcc, 0, v0
	s_and_b64 vcc, s[28:29], vcc
	s_and_saveexec_b64 s[16:17], vcc
	s_cbranch_execz .LBB6_724
; %bb.706:                              ;   in Loop: Header=BB6_661 Depth=1
	s_and_saveexec_b64 vcc, s[26:27]
	s_xor_b64 s[36:37], exec, vcc
	s_cbranch_execz .LBB6_721
; %bb.707:                              ;   in Loop: Header=BB6_661 Depth=1
	s_and_saveexec_b64 s[38:39], s[6:7]
	s_cbranch_execz .LBB6_720
; %bb.708:                              ;   in Loop: Header=BB6_661 Depth=1
	s_mov_b64 s[42:43], exec
	v_mbcnt_lo_u32_b32 v0, s42, 0
	v_mbcnt_hi_u32_b32 v0, s43, v0
	v_cmp_eq_u32_e32 vcc, 0, v0
	s_waitcnt lgkmcnt(0)
	s_and_saveexec_b64 s[40:41], vcc
	s_cbranch_execz .LBB6_710
; %bb.709:                              ;   in Loop: Header=BB6_661 Depth=1
	s_bcnt1_i32_b64 vcc_lo, s[42:43]
	v_mov_b32_e32 v12, vcc_lo
	ds_add_u64 v0, v[12:13]
	s_trap 2
.LBB6_710:                              ;   in Loop: Header=BB6_661 Depth=1
	s_or_b64 exec, exec, s[40:41]
	s_trap 2
	ds_read_b64 v[0:1], v0
	v_lshl_add_u64 v[58:59], v[58:59], 0, v[10:11]
	s_waitcnt lgkmcnt(0)
	v_cmp_lt_u64_e32 vcc, v[0:1], v[58:59]
	s_and_saveexec_b64 s[40:41], vcc
	s_cbranch_execz .LBB6_719
; %bb.711:                              ;   in Loop: Header=BB6_661 Depth=1
	s_mov_b32 s52, 0
	s_mov_b64 s[42:43], 0
                                        ; implicit-def: $sgpr44_sgpr45
                                        ; implicit-def: $sgpr46_sgpr47
	s_branch .LBB6_713
.LBB6_712:                              ;   in Loop: Header=BB6_713 Depth=2
	s_or_b64 exec, exec, s[50:51]
	s_and_b64 vcc, exec, vcc
	s_or_b64 s[42:43], vcc, s[42:43]
	s_andn2_b64 vcc, s[44:45], exec
	s_and_b64 s[44:45], s[46:47], exec
	s_or_b64 s[44:45], vcc, s[44:45]
	s_andn2_b64 exec, exec, s[42:43]
	s_cbranch_execz .LBB6_717
.LBB6_713:                              ;   Parent Loop BB6_661 Depth=1
                                        ; =>  This Inner Loop Header: Depth=2
	s_add_i32 s52, s52, 1
	s_cmpk_lg_i32 s52, 0x2710
	s_cselect_b64 s[48:49], -1, 0
	s_and_b64 vcc, exec, s[48:49]
                                        ; implicit-def: $sgpr50_sgpr51
	s_cbranch_vccnz .LBB6_715
; %bb.714:                              ;   in Loop: Header=BB6_713 Depth=2
	s_trap 2
	ds_read_b64 v[0:1], v0
	s_andn2_b64 s[48:49], s[48:49], exec
	s_mov_b32 s52, 0
	s_mov_b64 s[50:51], -1
	s_waitcnt vmcnt(0) lgkmcnt(0)
	flat_load_dword v0, v[0:1] sc0 sc1
	s_waitcnt vmcnt(0) lgkmcnt(0)
	buffer_inv sc0 sc1
	v_cmp_eq_u32_e32 vcc, 0, v0
	s_and_b64 vcc, vcc, exec
	s_or_b64 s[48:49], s[48:49], vcc
.LBB6_715:                              ;   in Loop: Header=BB6_713 Depth=2
	s_andn2_b64 s[46:47], s[46:47], exec
	s_and_b64 s[50:51], s[50:51], exec
	s_mov_b64 vcc, -1
	s_or_b64 s[46:47], s[46:47], s[50:51]
	s_and_saveexec_b64 s[50:51], s[48:49]
	s_cbranch_execz .LBB6_712
; %bb.716:                              ;   in Loop: Header=BB6_713 Depth=2
	s_sleep 1
	s_trap 2
	ds_read_b64 v[0:1], v0
	s_andn2_b64 s[46:47], s[46:47], exec
	s_waitcnt lgkmcnt(0)
	v_cmp_ge_u64_e32 vcc, v[0:1], v[58:59]
	s_orn2_b64 vcc, vcc, exec
	s_branch .LBB6_712
.LBB6_717:                              ;   in Loop: Header=BB6_661 Depth=1
	s_or_b64 exec, exec, s[42:43]
	s_and_saveexec_b64 vcc, s[44:45]
	s_xor_b64 vcc, exec, vcc
	s_cbranch_execz .LBB6_719
; %bb.718:                              ;   in Loop: Header=BB6_661 Depth=1
	ds_write_b32 v0, v42
	s_trap 2
.LBB6_719:                              ;   in Loop: Header=BB6_661 Depth=1
	s_or_b64 exec, exec, s[40:41]
	;;#ASMSTART
	s_wakeup
	;;#ASMEND
.LBB6_720:                              ;   in Loop: Header=BB6_661 Depth=1
	s_or_b64 exec, exec, s[38:39]
.LBB6_721:                              ;   in Loop: Header=BB6_661 Depth=1
	s_andn2_saveexec_b64 vcc, s[36:37]
	s_cbranch_execz .LBB6_723
; %bb.722:                              ;   in Loop: Header=BB6_661 Depth=1
	s_waitcnt lgkmcnt(0)
	s_barrier
.LBB6_723:                              ;   in Loop: Header=BB6_661 Depth=1
	s_or_b64 exec, exec, vcc
.LBB6_724:                              ;   in Loop: Header=BB6_661 Depth=1
	s_or_b64 exec, exec, s[16:17]
	s_trap 2
	ds_read_b64 v[0:1], v0
	s_waitcnt lgkmcnt(0)
	v_readfirstlane_b32 s16, v0
	v_readfirstlane_b32 s17, v1
	s_cmp_eq_u64 s[16:17], 0
	s_cselect_b64 s[16:17], -1, 0
	s_or_b64 vcc, s[16:17], s[16:17]
	s_mov_b64 s[16:17], 0
	s_and_b64 vcc, exec, vcc
	s_cbranch_vccnz .LBB6_753
; %bb.725:                              ;   in Loop: Header=BB6_661 Depth=1
	s_mov_b64 s[16:17], -1
	s_and_saveexec_b64 s[36:37], s[10:11]
	s_cbranch_execz .LBB6_727
; %bb.726:                              ;   in Loop: Header=BB6_661 Depth=1
	ds_read_b32 v0, v0 offset:720
	s_waitcnt lgkmcnt(0)
	v_and_b32_e32 v0, 15, v0
	v_cmp_eq_u32_e32 vcc, 0, v0
	s_orn2_b64 s[16:17], vcc, exec
.LBB6_727:                              ;   in Loop: Header=BB6_661 Depth=1
	s_or_b64 exec, exec, s[36:37]
	s_and_saveexec_b64 s[36:37], s[12:13]
	s_cbranch_execz .LBB6_729
; %bb.728:                              ;   in Loop: Header=BB6_661 Depth=1
	ds_read_b32 v0, v0 offset:784
	s_waitcnt lgkmcnt(0)
	v_and_b32_e32 v0, 15, v0
	v_cmp_eq_u32_e32 vcc, 0, v0
	s_and_b64 vcc, s[16:17], vcc
	s_andn2_b64 s[16:17], s[16:17], exec
	s_and_b64 vcc, vcc, exec
	s_or_b64 s[16:17], s[16:17], vcc
.LBB6_729:                              ;   in Loop: Header=BB6_661 Depth=1
	s_or_b64 exec, exec, s[36:37]
	v_cmp_eq_u32_e32 vcc, 0, v2
	s_xor_b64 s[16:17], s[16:17], -1
	v_cndmask_b32_e64 v0, 0, 1, s[16:17]
	v_cndmask_b32_e32 v2, 0, v43, vcc
	v_mov_b32_e32 v12, 0
	v_lshlrev_b32_e32 v3, 1, v2
	s_mov_b64 s[38:39], -1
	;;#ASMSTART
	;;#ASMEND
	s_nop 0
	v_cmp_ne_u32_e32 vcc, 0, v0
	s_cbranch_vccz .LBB6_731
; %bb.730:                              ;   in Loop: Header=BB6_661 Depth=1
	v_mov_b32_e32 v25, v45
	v_mov_b32_e32 v32, v60
	s_and_saveexec_b64 s[16:17], s[38:39]
	s_cbranch_execnz .LBB6_744
	s_branch .LBB6_752
.LBB6_731:                              ;   in Loop: Header=BB6_661 Depth=1
	v_lshrrev_b32_e32 v12, 11, v2
	v_sub_u32_e32 v27, v12, v60
	v_cmp_lt_i32_e32 vcc, 0, v27
	s_and_saveexec_b64 s[16:17], vcc
	s_cbranch_execz .LBB6_735
; %bb.732:                              ;   in Loop: Header=BB6_661 Depth=1
	s_trap 2
	ds_read_b64 v[28:29], v0
	v_accvgpr_write_b32 a12, v58
	v_accvgpr_write_b32 a2, v56
	;; [unrolled: 1-line block ×4, first 2 shown]
	s_mov_b64 s[36:37], 0
	s_waitcnt lgkmcnt(0)
	v_mov_b64_e32 v[32:33], v[28:29]
.LBB6_733:                              ;   Parent Loop BB6_661 Depth=1
                                        ; =>  This Inner Loop Header: Depth=2
	v_lshl_add_u64 v[0:1], v[14:15], 0, v[32:33]
	global_load_dwordx4 v[52:55], v[0:1], off nt
	global_load_dwordx4 v[44:47], v[0:1], off offset:1024 nt
	global_load_dwordx4 v[56:59], v[0:1], off offset:2048 nt
	global_load_dwordx4 v[48:51], v[0:1], off offset:3072 nt
	v_sub_u32_e32 v27, v27, v10
	v_cmp_gt_i32_e32 vcc, 1, v27
	v_lshl_add_u64 v[0:1], v[14:15], 0, v[28:29]
	v_lshl_add_u64 v[32:33], v[32:33], 0, v[16:17]
	;; [unrolled: 1-line block ×3, first 2 shown]
	s_or_b64 s[36:37], vcc, s[36:37]
	s_waitcnt vmcnt(0)
	global_store_dwordx4 v[0:1], v[52:55], off nt
	global_store_dwordx4 v[0:1], v[44:47], off offset:1024 nt
	global_store_dwordx4 v[0:1], v[56:59], off offset:2048 nt
	global_store_dwordx4 v[0:1], v[48:51], off offset:3072 nt
	s_andn2_b64 exec, exec, s[36:37]
	s_cbranch_execnz .LBB6_733
; %bb.734:                              ;   in Loop: Header=BB6_661 Depth=1
	s_or_b64 exec, exec, s[36:37]
	v_accvgpr_read_b32 v57, a3
	v_accvgpr_read_b32 v59, a13
	v_mov_b32_e32 v45, v31
	v_accvgpr_read_b32 v56, a2
	v_accvgpr_read_b32 v58, a12
.LBB6_735:                              ;   in Loop: Header=BB6_661 Depth=1
	s_or_b64 exec, exec, s[16:17]
	v_lshlrev_b32_e32 v26, 12, v12
	v_cmp_ne_u32_e32 vcc, v3, v26
	s_mov_b64 s[38:39], 0
	v_mov_b32_e32 v12, 0
                                        ; implicit-def: $vgpr25
                                        ; implicit-def: $vgpr32
	s_and_saveexec_b64 s[36:37], vcc
	s_cbranch_execz .LBB6_743
; %bb.736:                              ;   in Loop: Header=BB6_661 Depth=1
	v_lshlrev_b32_e32 v1, 6, v27
	v_sub_u32_e32 v1, v61, v1
	v_ashrrev_i32_e32 v12, 31, v1
	v_lshrrev_b32_e32 v12, 26, v12
	v_add_u32_e32 v12, v1, v12
	v_ashrrev_i32_e32 v28, 6, v12
	v_and_b32_e32 v12, 0xffffffc0, v12
	v_sub_u32_e32 v27, v1, v12
	v_sub_u32_e32 v0, v3, v26
	v_lshlrev_b32_e32 v1, 4, v27
	v_lshl_add_u32 v25, v28, 10, v1
	v_ashrrev_i32_e32 v1, 31, v0
	v_lshrrev_b32_e32 v1, 22, v1
	v_add_u32_e32 v1, v0, v1
	v_and_b32_e32 v52, 0xfffffc00, v1
	v_sub_u32_e32 v54, v0, v52
	v_ashrrev_i32_e32 v29, 10, v1
	v_cmp_lt_i32_e32 vcc, 15, v54
	v_sub_u32_e32 v12, v0, v25
	s_nop 0
	v_addc_co_u32_e64 v0, s[16:17], 0, v29, vcc
	v_sub_u32_e32 v53, v0, v28
	v_cmp_lt_i32_e64 s[16:17], 15, v12
	s_and_saveexec_b64 s[38:39], s[16:17]
	s_cbranch_execz .LBB6_740
; %bb.737:                              ;   in Loop: Header=BB6_661 Depth=1
	s_trap 2
	ds_read_b64 v[28:29], v0
	v_add_u32_e32 v32, v25, v26
	v_ashrrev_i32_e32 v33, 31, v32
	s_mov_b64 s[40:41], 0
.LBB6_738:                              ;   Parent Loop BB6_661 Depth=1
                                        ; =>  This Inner Loop Header: Depth=2
	s_waitcnt lgkmcnt(0)
	v_lshl_add_u64 v[0:1], v[28:29], 0, v[32:33]
	global_load_dwordx4 v[48:51], v[0:1], off nt
	v_sub_u32_e32 v12, v12, v40
	v_cmp_gt_i32_e64 s[16:17], 16, v12
	v_sub_u32_e32 v53, v53, v10
	v_lshl_add_u64 v[32:33], v[32:33], 0, v[18:19]
	s_or_b64 s[40:41], s[16:17], s[40:41]
	s_waitcnt vmcnt(0)
	global_store_dwordx4 v[0:1], v[48:51], off nt
	s_andn2_b64 exec, exec, s[40:41]
	s_cbranch_execnz .LBB6_738
; %bb.739:                              ;   in Loop: Header=BB6_661 Depth=1
	s_or_b64 exec, exec, s[40:41]
.LBB6_740:                              ;   in Loop: Header=BB6_661 Depth=1
	s_or_b64 exec, exec, s[38:39]
	v_and_b32_e32 v28, 14, v3
	v_cndmask_b32_e32 v3, v54, v28, vcc
	v_cmp_ne_u32_e64 s[16:17], 0, v3
	s_mov_b64 s[38:39], 0
	v_mov_b32_e32 v12, 0
                                        ; implicit-def: $vgpr25
                                        ; implicit-def: $vgpr32
	s_and_saveexec_b64 s[40:41], s[16:17]
	s_cbranch_execz .LBB6_742
; %bb.741:                              ;   in Loop: Header=BB6_661 Depth=1
	v_sub_u32_e32 v0, v54, v28
	v_cndmask_b32_e32 v0, 0, v0, vcc
	v_cmp_lt_i32_e32 vcc, 0, v53
	v_add3_u32 v12, v52, v26, v0
	s_mov_b64 s[38:39], exec
	v_cndmask_b32_e32 v0, 0, v10, vcc
	v_sub_u32_e32 v0, v0, v53
	v_lshl_add_u32 v25, v0, 6, v27
	v_ashrrev_i32_e32 v0, 31, v25
	v_lshrrev_b32_e32 v0, 26, v0
	v_add_u32_e32 v0, v25, v0
	v_ashrrev_i32_e32 v32, 6, v0
.LBB6_742:                              ;   in Loop: Header=BB6_661 Depth=1
	s_or_b64 exec, exec, s[40:41]
	s_and_b64 s[38:39], s[38:39], exec
.LBB6_743:                              ;   in Loop: Header=BB6_661 Depth=1
	s_or_b64 exec, exec, s[36:37]
	s_and_saveexec_b64 s[16:17], s[38:39]
	s_cbranch_execz .LBB6_752
.LBB6_744:                              ;   in Loop: Header=BB6_661 Depth=1
	v_ashrrev_i32_e32 v0, 31, v3
	v_lshrrev_b32_e32 v0, 22, v0
	v_add_u32_e32 v0, v3, v0
	v_ashrrev_i32_e32 v52, 10, v0
	v_sub_u32_e32 v26, v52, v32
	v_ashrrev_i32_e32 v0, 31, v25
	v_cmp_lt_i32_e32 vcc, 0, v26
	v_lshrrev_b32_e32 v27, 26, v0
	s_and_saveexec_b64 s[36:37], vcc
	s_cbranch_execz .LBB6_748
; %bb.745:                              ;   in Loop: Header=BB6_661 Depth=1
	s_trap 2
	ds_read_b64 v[28:29], v0
	v_add_u32_e32 v0, v25, v27
	v_and_b32_e32 v0, 0x7fffffc0, v0
	v_sub_u32_e32 v0, v25, v0
	v_lshlrev_b32_e32 v0, 1, v0
	v_lshlrev_b32_e32 v1, 10, v32
	v_add3_u32 v32, v0, v12, v1
	v_ashrrev_i32_e32 v33, 31, v32
	s_mov_b64 s[38:39], 0
	s_waitcnt lgkmcnt(0)
	v_mov_b64_e32 v[54:55], v[28:29]
.LBB6_746:                              ;   Parent Loop BB6_661 Depth=1
                                        ; =>  This Inner Loop Header: Depth=2
	v_lshl_add_u64 v[0:1], v[32:33], 0, v[54:55]
	flat_load_ushort v48, v[0:1] nt
	flat_load_ushort v49, v[0:1] offset:128 nt
	flat_load_ushort v50, v[0:1] offset:256 nt
	flat_load_ushort v51, v[0:1] offset:384 nt
	flat_load_ushort v53, v[0:1] offset:512 nt
	flat_load_ushort v44, v[0:1] offset:640 nt
	flat_load_ushort v45, v[0:1] offset:768 nt
	flat_load_ushort v46, v[0:1] offset:896 nt
	v_sub_u32_e32 v26, v26, v10
	v_cmp_gt_i32_e32 vcc, 1, v26
	v_lshl_add_u64 v[0:1], v[32:33], 0, v[28:29]
	v_lshl_add_u64 v[54:55], v[54:55], 0, v[18:19]
	;; [unrolled: 1-line block ×3, first 2 shown]
	s_or_b64 s[38:39], vcc, s[38:39]
	s_waitcnt vmcnt(0) lgkmcnt(0)
	flat_store_short v[0:1], v48 nt
	flat_store_short v[0:1], v49 offset:128 nt
	flat_store_short v[0:1], v50 offset:256 nt
	;; [unrolled: 1-line block ×7, first 2 shown]
	s_andn2_b64 exec, exec, s[38:39]
	s_cbranch_execnz .LBB6_746
; %bb.747:                              ;   in Loop: Header=BB6_661 Depth=1
	s_or_b64 exec, exec, s[38:39]
	v_mov_b32_e32 v45, v31
.LBB6_748:                              ;   in Loop: Header=BB6_661 Depth=1
	s_or_b64 exec, exec, s[36:37]
	v_lshlrev_b32_e32 v28, 10, v52
	v_cmp_ne_u32_e32 vcc, v3, v28
	s_and_b64 exec, exec, vcc
	s_cbranch_execz .LBB6_752
; %bb.749:                              ;   in Loop: Header=BB6_661 Depth=1
	v_add_u32_e32 v0, v25, v27
	v_and_b32_e32 v0, 0xffffffc0, v0
	v_sub_u32_e32 v0, v25, v0
	v_lshlrev_b32_e32 v1, 6, v26
	v_sub_u32_e32 v0, v0, v1
	v_ashrrev_i32_e32 v1, 31, v0
	v_lshrrev_b32_e32 v1, 26, v1
	v_add_u32_e32 v1, v0, v1
	v_and_b32_e32 v25, 0x7fffffc0, v1
	v_sub_u32_e32 v0, v0, v25
	v_lshlrev_b32_e32 v1, 1, v1
	v_and_b32_e32 v1, 0xffffff80, v1
	v_lshlrev_b32_e32 v0, 1, v0
	v_add3_u32 v25, v1, v0, v28
	v_sub_u32_e32 v3, v3, v25
	v_cmp_lt_i32_e32 vcc, 1, v3
	s_and_b64 exec, exec, vcc
	s_cbranch_execz .LBB6_752
; %bb.750:                              ;   in Loop: Header=BB6_661 Depth=1
	s_trap 2
	ds_read_b64 v[28:29], v0
	v_add_u32_e32 v32, v25, v12
	v_ashrrev_i32_e32 v33, 31, v32
	s_mov_b64 s[36:37], 0
.LBB6_751:                              ;   Parent Loop BB6_661 Depth=1
                                        ; =>  This Inner Loop Header: Depth=2
	s_waitcnt lgkmcnt(0)
	v_lshl_add_u64 v[0:1], v[28:29], 0, v[32:33]
	flat_load_ushort v12, v[0:1] nt
	v_sub_u32_e32 v3, v3, v41
	v_cmp_gt_i32_e32 vcc, 2, v3
	v_lshl_add_u64 v[32:33], v[32:33], 0, v[20:21]
	s_or_b64 s[36:37], vcc, s[36:37]
	s_waitcnt vmcnt(0) lgkmcnt(0)
	flat_store_short v[0:1], v12 nt
	s_andn2_b64 exec, exec, s[36:37]
	s_cbranch_execnz .LBB6_751
.LBB6_752:                              ;   in Loop: Header=BB6_661 Depth=1
	s_or_b64 exec, exec, s[16:17]
	v_cmp_ne_u32_e64 s[16:17], 0, v2
.LBB6_753:                              ;   in Loop: Header=BB6_661 Depth=1
	s_and_saveexec_b64 s[36:37], s[4:5]
	s_cbranch_execz .LBB6_772
; %bb.754:                              ;   in Loop: Header=BB6_661 Depth=1
	s_and_saveexec_b64 vcc, s[26:27]
	s_xor_b64 s[38:39], exec, vcc
	s_cbranch_execz .LBB6_769
; %bb.755:                              ;   in Loop: Header=BB6_661 Depth=1
	s_and_saveexec_b64 s[40:41], s[6:7]
	s_cbranch_execz .LBB6_768
; %bb.756:                              ;   in Loop: Header=BB6_661 Depth=1
	s_mov_b64 s[44:45], exec
	v_mbcnt_lo_u32_b32 v0, s44, 0
	v_mbcnt_hi_u32_b32 v0, s45, v0
	v_cmp_eq_u32_e32 vcc, 0, v0
	s_waitcnt lgkmcnt(0)
	s_and_saveexec_b64 s[42:43], vcc
	s_cbranch_execz .LBB6_758
; %bb.757:                              ;   in Loop: Header=BB6_661 Depth=1
	s_bcnt1_i32_b64 vcc_lo, s[44:45]
	v_mov_b32_e32 v12, vcc_lo
	ds_add_u64 v0, v[12:13]
	s_trap 2
.LBB6_758:                              ;   in Loop: Header=BB6_661 Depth=1
	s_or_b64 exec, exec, s[42:43]
	s_trap 2
	ds_read_b64 v[0:1], v0
	v_lshl_add_u64 v[58:59], v[58:59], 0, v[10:11]
	s_waitcnt lgkmcnt(0)
	v_cmp_lt_u64_e32 vcc, v[0:1], v[58:59]
	s_and_saveexec_b64 s[42:43], vcc
	s_cbranch_execz .LBB6_767
; %bb.759:                              ;   in Loop: Header=BB6_661 Depth=1
	s_mov_b32 s56, 0
	s_mov_b64 s[44:45], 0
                                        ; implicit-def: $sgpr46_sgpr47
                                        ; implicit-def: $sgpr48_sgpr49
	s_branch .LBB6_761
.LBB6_760:                              ;   in Loop: Header=BB6_761 Depth=2
	s_or_b64 exec, exec, s[52:53]
	s_and_b64 vcc, exec, vcc
	s_or_b64 s[44:45], vcc, s[44:45]
	s_andn2_b64 vcc, s[46:47], exec
	s_and_b64 s[46:47], s[48:49], exec
	s_or_b64 s[46:47], vcc, s[46:47]
	s_andn2_b64 exec, exec, s[44:45]
	s_cbranch_execz .LBB6_765
.LBB6_761:                              ;   Parent Loop BB6_661 Depth=1
                                        ; =>  This Inner Loop Header: Depth=2
	s_add_i32 s56, s56, 1
	s_cmpk_lg_i32 s56, 0x2710
	s_cselect_b64 s[50:51], -1, 0
	s_and_b64 vcc, exec, s[50:51]
                                        ; implicit-def: $sgpr52_sgpr53
	s_cbranch_vccnz .LBB6_763
; %bb.762:                              ;   in Loop: Header=BB6_761 Depth=2
	s_trap 2
	ds_read_b64 v[0:1], v0
	s_andn2_b64 s[50:51], s[50:51], exec
	s_mov_b32 s56, 0
	s_mov_b64 s[52:53], -1
	s_waitcnt vmcnt(0) lgkmcnt(0)
	flat_load_dword v0, v[0:1] sc0 sc1
	s_waitcnt vmcnt(0) lgkmcnt(0)
	buffer_inv sc0 sc1
	v_cmp_eq_u32_e32 vcc, 0, v0
	s_and_b64 vcc, vcc, exec
	s_or_b64 s[50:51], s[50:51], vcc
.LBB6_763:                              ;   in Loop: Header=BB6_761 Depth=2
	s_andn2_b64 s[48:49], s[48:49], exec
	s_and_b64 s[52:53], s[52:53], exec
	s_mov_b64 vcc, -1
	s_or_b64 s[48:49], s[48:49], s[52:53]
	s_and_saveexec_b64 s[52:53], s[50:51]
	s_cbranch_execz .LBB6_760
; %bb.764:                              ;   in Loop: Header=BB6_761 Depth=2
	s_sleep 1
	s_trap 2
	ds_read_b64 v[0:1], v0
	s_andn2_b64 s[48:49], s[48:49], exec
	s_waitcnt lgkmcnt(0)
	v_cmp_ge_u64_e32 vcc, v[0:1], v[58:59]
	s_orn2_b64 vcc, vcc, exec
	s_branch .LBB6_760
.LBB6_765:                              ;   in Loop: Header=BB6_661 Depth=1
	s_or_b64 exec, exec, s[44:45]
	s_and_saveexec_b64 vcc, s[46:47]
	s_xor_b64 vcc, exec, vcc
	s_cbranch_execz .LBB6_767
; %bb.766:                              ;   in Loop: Header=BB6_661 Depth=1
	ds_write_b32 v0, v42
	s_trap 2
.LBB6_767:                              ;   in Loop: Header=BB6_661 Depth=1
	s_or_b64 exec, exec, s[42:43]
	;;#ASMSTART
	s_wakeup
	;;#ASMEND
.LBB6_768:                              ;   in Loop: Header=BB6_661 Depth=1
	s_or_b64 exec, exec, s[40:41]
.LBB6_769:                              ;   in Loop: Header=BB6_661 Depth=1
	s_andn2_saveexec_b64 vcc, s[38:39]
	s_cbranch_execz .LBB6_771
; %bb.770:                              ;   in Loop: Header=BB6_661 Depth=1
	s_waitcnt lgkmcnt(0)
	s_barrier
.LBB6_771:                              ;   in Loop: Header=BB6_661 Depth=1
	s_or_b64 exec, exec, vcc
.LBB6_772:                              ;   in Loop: Header=BB6_661 Depth=1
	s_or_b64 exec, exec, s[36:37]
	v_and_b32_e32 v2, 16, v62
	v_cmp_ne_u32_e32 vcc, 0, v2
	s_and_b64 vcc, vcc, s[16:17]
	s_and_saveexec_b64 s[16:17], vcc
	s_cbranch_execz .LBB6_774
; %bb.773:                              ;   in Loop: Header=BB6_661 Depth=1
	buffer_wbl2 sc1
	s_waitcnt vmcnt(0) lgkmcnt(0)
	buffer_inv sc1
.LBB6_774:                              ;   in Loop: Header=BB6_661 Depth=1
	s_or_b64 exec, exec, s[16:17]
	v_cmp_ne_u32_e32 vcc, 0, v2
	s_and_saveexec_b64 s[16:17], vcc
	s_cbranch_execz .LBB6_778
; %bb.775:                              ;   in Loop: Header=BB6_661 Depth=1
	s_and_saveexec_b64 vcc, s[14:15]
	s_cbranch_execz .LBB6_777
; %bb.776:                              ;   in Loop: Header=BB6_661 Depth=1
	v_accvgpr_read_b32 v0, a14
	v_accvgpr_read_b32 v1, a15
	flat_store_dword v[0:1], v42 sc0 sc1
.LBB6_777:                              ;   in Loop: Header=BB6_661 Depth=1
	s_or_b64 exec, exec, vcc
	v_lshl_add_u64 v[8:9], v[8:9], 0, 1
	flat_store_dwordx2 v[34:35], v[8:9] sc0 sc1
.LBB6_778:                              ;   in Loop: Header=BB6_661 Depth=1
	s_or_b64 exec, exec, s[16:17]
	v_mov_b32_e32 v2, v43
.LBB6_779:                              ;   in Loop: Header=BB6_661 Depth=1
	s_or_b64 exec, exec, s[34:35]
	s_and_saveexec_b64 s[34:35], s[30:31]
	s_cbranch_execz .LBB6_660
; %bb.780:                              ;   in Loop: Header=BB6_661 Depth=1
	v_and_b32_e32 v0, 8, v62
	v_cmp_ne_u32_e32 vcc, 0, v0
	s_mov_b64 s[30:31], -1
	v_lshl_add_u64 v[28:29], v[8:9], 0, 1
	s_and_saveexec_b64 s[16:17], vcc
	s_cbranch_execz .LBB6_792
; %bb.781:                              ;   in Loop: Header=BB6_661 Depth=1
	v_lshl_add_u64 v[0:1], v[38:39], 0, 8
	v_lshl_add_u64 v[32:33], v[8:9], 0, 1
	v_cmp_lt_u64_e32 vcc, v[0:1], v[32:33]
	v_mov_b32_e32 v3, 1
	s_and_saveexec_b64 s[30:31], vcc
	s_cbranch_execz .LBB6_791
; %bb.782:                              ;   in Loop: Header=BB6_661 Depth=1
	s_mov_b64 s[36:37], 0
	v_mov_b32_e32 v3, 0
                                        ; implicit-def: $sgpr38_sgpr39
	s_branch .LBB6_786
.LBB6_783:                              ;   in Loop: Header=BB6_786 Depth=2
	s_or_b64 exec, exec, s[46:47]
	v_mov_b32_e32 v12, 0
	s_orn2_b64 s[44:45], s[44:45], exec
.LBB6_784:                              ;   in Loop: Header=BB6_786 Depth=2
	s_or_b64 exec, exec, s[42:43]
	s_andn2_b64 vcc, s[38:39], exec
	s_and_b64 s[38:39], s[44:45], exec
	s_or_b64 s[38:39], vcc, s[38:39]
	v_mov_b32_e32 v3, v12
.LBB6_785:                              ;   in Loop: Header=BB6_786 Depth=2
	s_or_b64 exec, exec, s[40:41]
	s_waitcnt vmcnt(0) lgkmcnt(0)
	v_lshl_add_u64 v[0:1], v[38:39], 0, 8
	v_cmp_ge_u64_e32 vcc, v[0:1], v[32:33]
	s_xor_b64 s[40:41], s[38:39], -1
	s_or_b64 vcc, s[40:41], vcc
	s_and_b64 vcc, exec, vcc
	s_or_b64 s[36:37], vcc, s[36:37]
	s_andn2_b64 exec, exec, s[36:37]
	s_cbranch_execz .LBB6_790
.LBB6_786:                              ;   Parent Loop BB6_661 Depth=1
                                        ; =>  This Inner Loop Header: Depth=2
	s_sleep 1
	flat_load_dwordx2 v[38:39], v[34:35] sc0 sc1
	v_and_b32_e32 v0, 64, v62
	v_cmp_eq_u32_e32 vcc, 0, v0
	s_andn2_b64 s[38:39], s[38:39], exec
	s_and_saveexec_b64 s[40:41], vcc
	s_cbranch_execz .LBB6_785
; %bb.787:                              ;   in Loop: Header=BB6_786 Depth=2
	v_add_u32_e32 v12, 1, v3
	v_cmp_lt_i32_e32 vcc, s55, v3
	s_mov_b64 s[44:45], -1
	s_and_saveexec_b64 s[42:43], vcc
	s_cbranch_execz .LBB6_784
; %bb.788:                              ;   in Loop: Header=BB6_786 Depth=2
	s_trap 2
	ds_read_b64 v[0:1], v0
	s_waitcnt vmcnt(0) lgkmcnt(0)
	flat_load_dword v3, v[0:1] sc0 sc1
	s_waitcnt vmcnt(0) lgkmcnt(0)
	buffer_inv sc0 sc1
	v_cmp_ne_u32_e32 vcc, 0, v3
	s_and_saveexec_b64 s[46:47], vcc
	s_cbranch_execz .LBB6_783
; %bb.789:                              ;   in Loop: Header=BB6_786 Depth=2
	v_or_b32_e32 v62, 64, v62
	s_xor_b64 s[44:45], exec, -1
	ds_write_b32 v0, v3
	s_trap 2
	s_branch .LBB6_783
.LBB6_790:                              ;   in Loop: Header=BB6_661 Depth=1
	s_or_b64 exec, exec, s[36:37]
	v_and_b32_e32 v3, 8, v62
.LBB6_791:                              ;   in Loop: Header=BB6_661 Depth=1
	s_or_b64 exec, exec, s[30:31]
	v_cmp_eq_u32_e32 vcc, 0, v3
	s_orn2_b64 s[30:31], vcc, exec
	;;#ASMSTART
	s_wakeup
	;;#ASMEND
.LBB6_792:                              ;   in Loop: Header=BB6_661 Depth=1
	s_or_b64 exec, exec, s[16:17]
	v_sub_u32_e32 v0, v24, v2
	s_xor_b64 s[16:17], s[30:31], -1
	v_min_i32_e32 v24, v43, v0
	s_and_saveexec_b64 s[30:31], s[16:17]
	s_cbranch_execz .LBB6_802
; %bb.793:                              ;   in Loop: Header=BB6_661 Depth=1
	v_and_b32_e32 v0, 0x100, v62
	v_cmp_ne_u32_e32 vcc, 0, v0
	v_and_b32_e32 v12, 7, v8
	s_mov_b64 s[16:17], -1
                                        ; implicit-def: $vgpr8_vgpr9
	s_and_saveexec_b64 s[36:37], vcc
	s_cbranch_execz .LBB6_797
; %bb.794:                              ;   in Loop: Header=BB6_661 Depth=1
	v_mad_u64_u32 v[2:3], s[16:17], v12, 24, v[6:7]
	flat_load_dword v8, v[2:3]
	v_ashrrev_i32_e32 v25, 31, v24
	v_lshlrev_b64 v[0:1], 1, v[24:25]
	flat_store_dwordx2 v[2:3], v[0:1] offset:8
	s_waitcnt vmcnt(0) lgkmcnt(0)
	v_cmp_ne_u32_e32 vcc, 1, v8
	v_cmp_eq_u32_e64 s[16:17], 1, v8
                                        ; implicit-def: $vgpr8_vgpr9
	s_and_saveexec_b64 s[38:39], s[16:17]
	s_cbranch_execz .LBB6_796
; %bb.795:                              ;   in Loop: Header=BB6_661 Depth=1
	flat_load_dword v0, v[2:3] offset:4 sc0 sc1
	s_waitcnt vmcnt(0) lgkmcnt(0)
	v_ashrrev_i32_e32 v1, 31, v0
	v_lshrrev_b64 v[8:9], 1, v[0:1]
.LBB6_796:                              ;   in Loop: Header=BB6_661 Depth=1
	s_or_b64 exec, exec, s[38:39]
	s_orn2_b64 s[16:17], vcc, exec
.LBB6_797:                              ;   in Loop: Header=BB6_661 Depth=1
	s_or_b64 exec, exec, s[36:37]
	s_and_saveexec_b64 vcc, s[16:17]
; %bb.798:                              ;   in Loop: Header=BB6_661 Depth=1
	v_accvgpr_read_b32 v0, a8
	v_mad_i64_i32 v[8:9], s[16:17], v12, v0, 0
; %bb.799:                              ;   in Loop: Header=BB6_661 Depth=1
	s_or_b64 exec, exec, vcc
	v_accvgpr_read_b32 v0, a10
	v_accvgpr_read_b32 v1, a11
	v_lshl_add_u64 v[0:1], v[8:9], 1, v[0:1]
	ds_write_b64 v0, v[0:1] offset:784
	v_and_b32_e32 v0, 0x2000, v62
	v_cmp_ne_u32_e32 vcc, 0, v0
	s_and_saveexec_b64 s[16:17], vcc
	s_cbranch_execz .LBB6_801
; %bb.800:                              ;   in Loop: Header=BB6_661 Depth=1
	ds_read_b64 v[0:1], v0 offset:584
	s_waitcnt lgkmcnt(0)
	v_lshl_add_u64 v[0:1], v[0:1], 0, 1
	ds_write_b64 v0, v[0:1] offset:584
.LBB6_801:                              ;   in Loop: Header=BB6_661 Depth=1
	s_or_b64 exec, exec, s[16:17]
	v_mov_b64_e32 v[8:9], v[28:29]
.LBB6_802:                              ;   in Loop: Header=BB6_661 Depth=1
	s_or_b64 exec, exec, s[30:31]
	s_and_saveexec_b64 s[16:17], s[4:5]
	s_cbranch_execz .LBB6_821
; %bb.803:                              ;   in Loop: Header=BB6_661 Depth=1
	s_and_saveexec_b64 vcc, s[26:27]
	s_xor_b64 s[30:31], exec, vcc
	s_cbranch_execz .LBB6_818
; %bb.804:                              ;   in Loop: Header=BB6_661 Depth=1
	s_and_saveexec_b64 s[36:37], s[6:7]
	s_cbranch_execz .LBB6_817
; %bb.805:                              ;   in Loop: Header=BB6_661 Depth=1
	s_mov_b64 s[40:41], exec
	v_mbcnt_lo_u32_b32 v0, s40, 0
	v_mbcnt_hi_u32_b32 v0, s41, v0
	v_cmp_eq_u32_e32 vcc, 0, v0
	s_waitcnt lgkmcnt(0)
	s_and_saveexec_b64 s[38:39], vcc
	s_cbranch_execz .LBB6_807
; %bb.806:                              ;   in Loop: Header=BB6_661 Depth=1
	s_bcnt1_i32_b64 vcc_lo, s[40:41]
	v_mov_b32_e32 v12, vcc_lo
	ds_add_u64 v0, v[12:13]
	s_trap 2
.LBB6_807:                              ;   in Loop: Header=BB6_661 Depth=1
	s_or_b64 exec, exec, s[38:39]
	s_trap 2
	ds_read_b64 v[0:1], v0
	v_lshl_add_u64 v[58:59], v[58:59], 0, v[10:11]
	s_waitcnt lgkmcnt(0)
	v_cmp_lt_u64_e32 vcc, v[0:1], v[58:59]
	s_and_saveexec_b64 s[38:39], vcc
	s_cbranch_execz .LBB6_816
; %bb.808:                              ;   in Loop: Header=BB6_661 Depth=1
	s_mov_b32 s50, 0
	s_mov_b64 s[40:41], 0
                                        ; implicit-def: $sgpr42_sgpr43
                                        ; implicit-def: $sgpr44_sgpr45
	s_branch .LBB6_810
.LBB6_809:                              ;   in Loop: Header=BB6_810 Depth=2
	s_or_b64 exec, exec, s[48:49]
	s_and_b64 vcc, exec, vcc
	s_or_b64 s[40:41], vcc, s[40:41]
	s_andn2_b64 vcc, s[42:43], exec
	s_and_b64 s[42:43], s[44:45], exec
	s_or_b64 s[42:43], vcc, s[42:43]
	s_andn2_b64 exec, exec, s[40:41]
	s_cbranch_execz .LBB6_814
.LBB6_810:                              ;   Parent Loop BB6_661 Depth=1
                                        ; =>  This Inner Loop Header: Depth=2
	s_add_i32 s50, s50, 1
	s_cmpk_lg_i32 s50, 0x2710
	s_cselect_b64 s[46:47], -1, 0
	s_and_b64 vcc, exec, s[46:47]
                                        ; implicit-def: $sgpr48_sgpr49
	s_cbranch_vccnz .LBB6_812
; %bb.811:                              ;   in Loop: Header=BB6_810 Depth=2
	s_trap 2
	ds_read_b64 v[0:1], v0
	s_andn2_b64 s[46:47], s[46:47], exec
	s_mov_b32 s50, 0
	s_mov_b64 s[48:49], -1
	s_waitcnt vmcnt(0) lgkmcnt(0)
	flat_load_dword v0, v[0:1] sc0 sc1
	s_waitcnt vmcnt(0) lgkmcnt(0)
	buffer_inv sc0 sc1
	v_cmp_eq_u32_e32 vcc, 0, v0
	s_and_b64 vcc, vcc, exec
	s_or_b64 s[46:47], s[46:47], vcc
.LBB6_812:                              ;   in Loop: Header=BB6_810 Depth=2
	s_andn2_b64 s[44:45], s[44:45], exec
	s_and_b64 s[48:49], s[48:49], exec
	s_mov_b64 vcc, -1
	s_or_b64 s[44:45], s[44:45], s[48:49]
	s_and_saveexec_b64 s[48:49], s[46:47]
	s_cbranch_execz .LBB6_809
; %bb.813:                              ;   in Loop: Header=BB6_810 Depth=2
	s_sleep 1
	s_trap 2
	ds_read_b64 v[0:1], v0
	s_andn2_b64 s[44:45], s[44:45], exec
	s_waitcnt lgkmcnt(0)
	v_cmp_ge_u64_e32 vcc, v[0:1], v[58:59]
	s_orn2_b64 vcc, vcc, exec
	s_branch .LBB6_809
.LBB6_814:                              ;   in Loop: Header=BB6_661 Depth=1
	s_or_b64 exec, exec, s[40:41]
	s_and_saveexec_b64 vcc, s[42:43]
	s_xor_b64 vcc, exec, vcc
	s_cbranch_execz .LBB6_816
; %bb.815:                              ;   in Loop: Header=BB6_661 Depth=1
	ds_write_b32 v0, v42
	s_trap 2
.LBB6_816:                              ;   in Loop: Header=BB6_661 Depth=1
	s_or_b64 exec, exec, s[38:39]
	;;#ASMSTART
	s_wakeup
	;;#ASMEND
.LBB6_817:                              ;   in Loop: Header=BB6_661 Depth=1
	s_or_b64 exec, exec, s[36:37]
.LBB6_818:                              ;   in Loop: Header=BB6_661 Depth=1
	s_andn2_saveexec_b64 vcc, s[30:31]
	s_cbranch_execz .LBB6_820
; %bb.819:                              ;   in Loop: Header=BB6_661 Depth=1
	s_waitcnt lgkmcnt(0)
	s_barrier
.LBB6_820:                              ;   in Loop: Header=BB6_661 Depth=1
	s_or_b64 exec, exec, vcc
.LBB6_821:                              ;   in Loop: Header=BB6_661 Depth=1
	s_or_b64 exec, exec, s[16:17]
	s_trap 2
	ds_read_b32 v0, v0
	v_cmp_lt_i32_e32 vcc, 0, v24
	v_and_b32_e32 v2, 16, v62
	s_waitcnt lgkmcnt(0)
	v_readfirstlane_b32 s16, v0
	s_cmp_eq_u32 s16, 0
	s_cselect_b64 s[16:17], -1, 0
	s_and_b64 s[16:17], vcc, s[16:17]
	v_cmp_ne_u32_e32 vcc, 0, v2
	s_and_b64 vcc, vcc, s[16:17]
	s_and_saveexec_b64 s[16:17], vcc
	s_cbranch_execz .LBB6_823
; %bb.822:                              ;   in Loop: Header=BB6_661 Depth=1
	buffer_wbl2 sc1
	s_waitcnt vmcnt(0)
	buffer_inv sc1
.LBB6_823:                              ;   in Loop: Header=BB6_661 Depth=1
	s_or_b64 exec, exec, s[16:17]
	v_cmp_ne_u32_e32 vcc, 0, v2
	s_and_saveexec_b64 s[16:17], vcc
	s_cbranch_execz .LBB6_659
; %bb.824:                              ;   in Loop: Header=BB6_661 Depth=1
	s_and_saveexec_b64 vcc, s[14:15]
	s_cbranch_execz .LBB6_658
; %bb.825:                              ;   in Loop: Header=BB6_661 Depth=1
	v_accvgpr_read_b32 v0, a14
	v_accvgpr_read_b32 v1, a15
	flat_store_dword v[0:1], v42 sc0 sc1
	s_branch .LBB6_658
.LBB6_826:
	s_or_b64 exec, exec, s[24:25]
	v_accvgpr_read_b32 v27, a7
	v_accvgpr_read_b32 v25, a0
	v_mov_b32_e32 v31, v30
	v_accvgpr_read_b32 v19, a1
	v_accvgpr_read_b32 v26, a6
.LBB6_827:
	s_or_b64 exec, exec, s[22:23]
.LBB6_828:
	s_or_b64 exec, exec, s[18:19]
	v_and_b32_e32 v0, 0x800, v62
	v_cmp_eq_u32_e32 vcc, 0, v0
	s_and_saveexec_b64 s[0:1], vcc
	s_cbranch_execz .LBB6_863
; %bb.829:
	v_and_b32_e32 v0, 48, v62
	v_cmp_ne_u32_e32 vcc, 0, v0
	s_and_saveexec_b64 s[2:3], vcc
	s_cbranch_execz .LBB6_831
; %bb.830:
	s_waitcnt lgkmcnt(0)
	flat_store_dwordx2 v[26:27], v[8:9] offset:104
.LBB6_831:
	s_or_b64 exec, exec, s[2:3]
	s_movk_i32 s2, 0x88
	v_and_b32_e32 v0, 0x88, v62
	v_cmp_eq_u32_e32 vcc, s2, v0
	s_and_saveexec_b64 s[2:3], vcc
	s_cbranch_execz .LBB6_843
; %bb.832:
	s_waitcnt lgkmcnt(0)
	v_add_u32_e32 v0, -1, v8
	v_and_b32_e32 v0, 7, v0
	v_mad_u64_u32 v[0:1], s[4:5], v0, 24, v[6:7]
	v_lshl_add_u64 v[2:3], v[0:1], 0, 8
	s_mov_b64 s[4:5], 0
	v_mov_b32_e32 v0, 0
	s_movk_i32 s22, 0x270e
                                        ; implicit-def: $sgpr6_sgpr7
	s_branch .LBB6_837
.LBB6_833:                              ;   in Loop: Header=BB6_837 Depth=1
	s_or_b64 exec, exec, s[18:19]
	v_mov_b32_e32 v4, 0
	s_orn2_b64 s[16:17], s[16:17], exec
.LBB6_834:                              ;   in Loop: Header=BB6_837 Depth=1
	s_or_b64 exec, exec, s[14:15]
	s_and_b64 s[14:15], s[16:17], exec
	v_mov_b32_e32 v0, v4
.LBB6_835:                              ;   in Loop: Header=BB6_837 Depth=1
	s_or_b64 exec, exec, s[12:13]
	s_xor_b64 s[12:13], s[14:15], -1
	s_andn2_b64 s[6:7], s[6:7], exec
	s_and_b64 s[12:13], s[12:13], exec
	s_or_b64 s[6:7], s[6:7], s[12:13]
.LBB6_836:                              ;   in Loop: Header=BB6_837 Depth=1
	s_or_b64 exec, exec, s[10:11]
	s_and_b64 s[10:11], exec, s[6:7]
	s_or_b64 s[4:5], s[10:11], s[4:5]
	s_andn2_b64 exec, exec, s[4:5]
	s_cbranch_execz .LBB6_842
.LBB6_837:                              ; =>This Inner Loop Header: Depth=1
	flat_load_dwordx2 v[4:5], v[2:3] sc0 sc1
	s_waitcnt vmcnt(0)
	s_or_b64 s[6:7], s[6:7], exec
	s_waitcnt lgkmcnt(0)
	v_cmp_ne_u64_e32 vcc, -1, v[4:5]
	s_and_saveexec_b64 s[10:11], vcc
	s_cbranch_execz .LBB6_836
; %bb.838:                              ;   in Loop: Header=BB6_837 Depth=1
	v_and_b32_e32 v1, 64, v62
	v_cmp_eq_u32_e32 vcc, 0, v1
	s_mov_b64 s[14:15], 0
	s_and_saveexec_b64 s[12:13], vcc
	s_cbranch_execz .LBB6_835
; %bb.839:                              ;   in Loop: Header=BB6_837 Depth=1
	v_add_u32_e32 v4, 1, v0
	v_cmp_lt_i32_e32 vcc, s22, v0
	s_mov_b64 s[16:17], -1
	s_and_saveexec_b64 s[14:15], vcc
	s_cbranch_execz .LBB6_834
; %bb.840:                              ;   in Loop: Header=BB6_837 Depth=1
	s_trap 2
	ds_read_b64 v[0:1], v0
	s_waitcnt lgkmcnt(0)
	flat_load_dword v0, v[0:1] sc0 sc1
	s_waitcnt vmcnt(0) lgkmcnt(0)
	buffer_inv sc0 sc1
	v_cmp_ne_u32_e32 vcc, 0, v0
	s_and_saveexec_b64 s[18:19], vcc
	s_cbranch_execz .LBB6_833
; %bb.841:                              ;   in Loop: Header=BB6_837 Depth=1
	v_or_b32_e32 v62, 64, v62
	s_xor_b64 s[16:17], exec, -1
	ds_write_b32 v0, v0
	s_trap 2
	s_branch .LBB6_833
.LBB6_842:
	s_or_b64 exec, exec, s[4:5]
.LBB6_843:
	s_or_b64 exec, exec, s[2:3]
	v_and_b32_e32 v0, 0x2000, v62
	v_cmp_ne_u32_e32 vcc, 0, v0
	s_and_saveexec_b64 s[2:3], vcc
	s_cbranch_execz .LBB6_845
; %bb.844:
	s_trap 2
	ds_read_b64 v[0:1], v0
	v_accvgpr_read_b32 v2, a4
	v_accvgpr_read_b32 v3, a5
	s_waitcnt lgkmcnt(0)
	flat_store_dwordx2 v[2:3], v[0:1] offset:16
.LBB6_845:
	s_or_b64 exec, exec, s[2:3]
	v_cmp_ne_u32_e32 vcc, 64, v25
	s_and_b64 exec, exec, vcc
	s_cbranch_execz .LBB6_863
; %bb.846:
	v_cmp_ne_u32_sdwa s[2:3], v19, v25 src0_sel:WORD_0 src1_sel:DWORD
	s_and_saveexec_b64 s[4:5], s[2:3]
	s_xor_b64 s[2:3], exec, s[4:5]
	s_cbranch_execz .LBB6_861
; %bb.847:
	v_and_b32_e32 v0, 63, v31
	v_cmp_eq_u32_e32 vcc, 0, v0
	s_and_saveexec_b64 s[4:5], vcc
	s_cbranch_execz .LBB6_860
; %bb.848:
	s_mov_b64 s[10:11], exec
	v_mbcnt_lo_u32_b32 v0, s10, 0
	v_mbcnt_hi_u32_b32 v0, s11, v0
	v_cmp_eq_u32_e32 vcc, 0, v0
	s_waitcnt lgkmcnt(0)
	s_and_saveexec_b64 s[6:7], vcc
	s_cbranch_execz .LBB6_850
; %bb.849:
	s_bcnt1_i32_b64 s10, s[10:11]
	v_mov_b32_e32 v0, s10
	v_mov_b32_e32 v1, 0
	ds_add_u64 v0, v[0:1]
	s_trap 2
.LBB6_850:
	s_or_b64 exec, exec, s[6:7]
	v_ashrrev_i32_e32 v0, 31, v25
	v_lshrrev_b32_e32 v0, 26, v0
	s_trap 2
	ds_read_b64 v[2:3], v0
	v_add_u32_e32 v0, v25, v0
	v_ashrrev_i32_e32 v0, 6, v0
	v_ashrrev_i32_e32 v1, 31, v0
	v_lshl_add_u64 v[0:1], v[58:59], 0, v[0:1]
	s_waitcnt lgkmcnt(0)
	v_cmp_lt_u64_e32 vcc, v[2:3], v[0:1]
	s_and_saveexec_b64 s[6:7], vcc
	s_cbranch_execz .LBB6_859
; %bb.851:
	s_mov_b32 s24, 0
	s_mov_b64 s[10:11], 0
                                        ; implicit-def: $sgpr12_sgpr13
                                        ; implicit-def: $sgpr14_sgpr15
	s_branch .LBB6_853
.LBB6_852:                              ;   in Loop: Header=BB6_853 Depth=1
	s_or_b64 exec, exec, s[22:23]
	s_and_b64 s[16:17], exec, s[18:19]
	s_or_b64 s[10:11], s[16:17], s[10:11]
	s_andn2_b64 s[12:13], s[12:13], exec
	s_and_b64 s[16:17], s[14:15], exec
	s_or_b64 s[12:13], s[12:13], s[16:17]
	s_andn2_b64 exec, exec, s[10:11]
	s_cbranch_execz .LBB6_857
.LBB6_853:                              ; =>This Inner Loop Header: Depth=1
	s_add_i32 s24, s24, 1
	s_cmpk_lg_i32 s24, 0x2710
	s_cselect_b64 s[16:17], -1, 0
	s_and_b64 vcc, exec, s[16:17]
                                        ; implicit-def: $sgpr22_sgpr23
	s_cbranch_vccnz .LBB6_855
; %bb.854:                              ;   in Loop: Header=BB6_853 Depth=1
	s_trap 2
	ds_read_b64 v[2:3], v0
	s_andn2_b64 s[16:17], s[16:17], exec
	s_mov_b32 s24, 0
	s_mov_b64 s[22:23], -1
	s_waitcnt vmcnt(0) lgkmcnt(0)
	flat_load_dword v2, v[2:3] sc0 sc1
	s_waitcnt vmcnt(0) lgkmcnt(0)
	buffer_inv sc0 sc1
	v_cmp_eq_u32_e32 vcc, 0, v2
	s_and_b64 s[18:19], vcc, exec
	s_or_b64 s[16:17], s[16:17], s[18:19]
.LBB6_855:                              ;   in Loop: Header=BB6_853 Depth=1
	s_andn2_b64 s[14:15], s[14:15], exec
	s_and_b64 s[22:23], s[22:23], exec
	s_mov_b64 s[18:19], -1
	s_or_b64 s[14:15], s[14:15], s[22:23]
	s_and_saveexec_b64 s[22:23], s[16:17]
	s_cbranch_execz .LBB6_852
; %bb.856:                              ;   in Loop: Header=BB6_853 Depth=1
	s_sleep 1
	s_trap 2
	ds_read_b64 v[2:3], v0
	s_andn2_b64 s[14:15], s[14:15], exec
	s_waitcnt lgkmcnt(0)
	v_cmp_ge_u64_e32 vcc, v[2:3], v[0:1]
	s_orn2_b64 s[18:19], vcc, exec
	s_branch .LBB6_852
.LBB6_857:
	s_or_b64 exec, exec, s[10:11]
	s_and_saveexec_b64 s[10:11], s[12:13]
	s_xor_b64 s[10:11], exec, s[10:11]
	s_cbranch_execz .LBB6_859
; %bb.858:
	v_mov_b32_e32 v0, 1
	ds_write_b32 v0, v0
	s_trap 2
.LBB6_859:
	s_or_b64 exec, exec, s[6:7]
	;;#ASMSTART
	s_wakeup
	;;#ASMEND
.LBB6_860:
	s_or_b64 exec, exec, s[4:5]
.LBB6_861:
	s_andn2_saveexec_b64 s[2:3], s[2:3]
	s_cbranch_execz .LBB6_863
; %bb.862:
	s_waitcnt lgkmcnt(0)
	s_barrier
.LBB6_863:
	s_or_b64 exec, exec, s[0:1]
.LBB6_864:
	s_andn2_saveexec_b64 s[22:23], s[20:21]
	s_cbranch_execz .LBB6_866
; %bb.865:
	s_getpc_b64 s[0:1]
	s_add_u32 s0, s0, __PRETTY_FUNCTION__._ZN10PrimitivesI12hip_bfloat168FuncProdIS0_E12FanSymmetricILi1EELi0E11ProtoSimpleILi1ELi1ELi0ELi2ELi0ELi0EELi0ELb0ELi0ELi0ELi0EEC2EiiPKiS9_PKvPvmhhhP15ncclDevWorkCollP14ncclDevWorkP2pii@rel32@lo+4
	s_addc_u32 s1, s1, __PRETTY_FUNCTION__._ZN10PrimitivesI12hip_bfloat168FuncProdIS0_E12FanSymmetricILi1EELi0E11ProtoSimpleILi1ELi1ELi0ELi2ELi0ELi0EELi0ELb0ELi0ELi0ELi0EEC2EiiPKiS9_PKvPvmhhhP15ncclDevWorkCollP14ncclDevWorkP2pii@rel32@hi+12
	v_mov_b32_e32 v0, s0
	v_mov_b32_e32 v1, s1
	s_getpc_b64 s[2:3]
	s_add_u32 s2, s2, __assert_fail@rel32@lo+4
	s_addc_u32 s3, s3, __assert_fail@rel32@hi+12
	s_swappc_b64 s[30:31], s[2:3]
	; divergent unreachable
.LBB6_866:
	s_or_b64 exec, exec, s[22:23]
	scratch_load_dword v62, off, s33        ; 4-byte Folded Reload
	scratch_load_dword v61, off, s33 offset:4 ; 4-byte Folded Reload
	scratch_load_dword v60, off, s33 offset:8 ; 4-byte Folded Reload
	v_readlane_b32 s30, v63, 34
	v_readlane_b32 s31, v63, 35
	;; [unrolled: 1-line block ×36, first 2 shown]
	v_accvgpr_read_b32 v59, a31             ;  Reload Reuse
	v_accvgpr_read_b32 v58, a30             ;  Reload Reuse
	;; [unrolled: 1-line block ×12, first 2 shown]
	v_readlane_b32 s0, v63, 36
	s_or_saveexec_b64 s[2:3], -1
	scratch_load_dword v63, off, s33 offset:12 ; 4-byte Folded Reload
	s_mov_b64 exec, s[2:3]
	s_addk_i32 s32, 0xffe0
	s_mov_b32 s33, s0
	s_waitcnt vmcnt(0) lgkmcnt(0)
	s_setpc_b64 s[30:31]
.Lfunc_end6:
	.size	_ZN12_GLOBAL__N_17runRingI12hip_bfloat168FuncProdIS1_E11ProtoSimpleILi1ELi1ELi0ELi2ELi0ELi0EELi0ELi2ELi0EEEviiP15ncclDevWorkColl, .Lfunc_end6-_ZN12_GLOBAL__N_17runRingI12hip_bfloat168FuncProdIS1_E11ProtoSimpleILi1ELi1ELi0ELi2ELi0ELi0EELi0ELi2ELi0EEEviiP15ncclDevWorkColl
                                        ; -- End function
	.section	.AMDGPU.csdata,"",@progbits
; Function info:
; codeLenInByte = 25404
; NumSgprs: 74
; NumVgprs: 64
; NumAgprs: 32
; TotalNumVgprs: 96
; ScratchSize: 96
; MemoryBound: 1
	.text
	.p2align	2                               ; -- Begin function _Z46ncclDevFunc_Reduce_RING_SIMPLE_Prod_bf16_0_0_2v
	.type	_Z46ncclDevFunc_Reduce_RING_SIMPLE_Prod_bf16_0_0_2v,@function
_Z46ncclDevFunc_Reduce_RING_SIMPLE_Prod_bf16_0_0_2v: ; @_Z46ncclDevFunc_Reduce_RING_SIMPLE_Prod_bf16_0_0_2v
; %bb.0:
	s_waitcnt vmcnt(0) expcnt(0) lgkmcnt(0)
	s_mov_b32 s0, s33
	s_mov_b32 s33, s32
	s_or_saveexec_b64 s[2:3], -1
	scratch_store_dword off, v43, s33 offset:16 ; 4-byte Folded Spill
	s_mov_b64 exec, s[2:3]
	v_writelane_b32 v43, s0, 44
	s_add_i32 s32, s32, 32
	scratch_store_dword off, v40, s33 offset:12 ; 4-byte Folded Spill
	scratch_store_dword off, v41, s33 offset:8 ; 4-byte Folded Spill
	;; [unrolled: 1-line block ×3, first 2 shown]
	scratch_store_dword off, v63, s33       ; 4-byte Folded Spill
	v_writelane_b32 v43, s34, 0
	v_writelane_b32 v43, s35, 1
	;; [unrolled: 1-line block ×43, first 2 shown]
	s_nop 1
	v_writelane_b32 v43, s31, 43
	s_trap 2
	ds_read_b32 v0, v0
	v_mov_b32_e32 v40, v31
	s_mov_b32 s70, s12
	s_mov_b64 s[68:69], s[8:9]
	s_waitcnt lgkmcnt(0)
	v_cmp_gt_i32_e32 vcc, 1, v0
	s_cbranch_vccnz .LBB7_8
; %bb.1:
	s_mov_b32 s71, 0
	v_and_b32_e32 v41, 0x3ff, v40
	s_mov_b64 s[72:73], src_shared_base
	v_mov_b32_e32 v42, 6
	s_branch .LBB7_3
.LBB7_2:                                ;   in Loop: Header=BB7_3 Depth=1
	s_or_b64 exec, exec, s[74:75]
	s_trap 2
	ds_read_b32 v0, v0
	s_add_i32 s71, s71, 1
	s_waitcnt lgkmcnt(0)
	v_cmp_lt_i32_e32 vcc, s71, v0
	s_cbranch_vccz .LBB7_8
.LBB7_3:                                ; =>This Inner Loop Header: Depth=1
	s_trap 2
	ds_read_b32 v0, v0
	s_cmp_eq_u32 s71, 0
	s_cbranch_scc1 .LBB7_6
; %bb.4:                                ;   in Loop: Header=BB7_3 Depth=1
	s_trap 2
	s_waitcnt lgkmcnt(0)
	ds_read_b32 v1, v0
	s_waitcnt lgkmcnt(0)
	v_xor_b32_e32 v1, v1, v0
	v_and_b32_e32 v1, 0xff0000, v1
	v_cmp_eq_u32_e32 vcc, 0, v1
	s_cbranch_vccnz .LBB7_6
; %bb.5:                                ;   in Loop: Header=BB7_3 Depth=1
	s_barrier
	ds_read_b32 v0, v0
.LBB7_6:                                ;   in Loop: Header=BB7_3 Depth=1
	s_waitcnt lgkmcnt(0)
	v_lshlrev_b32_sdwa v1, v42, v0 dst_sel:DWORD dst_unused:UNUSED_PAD src0_sel:DWORD src1_sel:BYTE_2
	v_cmp_lt_u32_e32 vcc, v41, v1
	s_and_saveexec_b64 s[74:75], vcc
	s_cbranch_execz .LBB7_2
; %bb.7:                                ;   in Loop: Header=BB7_3 Depth=1
	s_mov_b64 s[8:9], s[68:69]
	s_mov_b32 s12, s70
	v_mov_b32_e32 v31, v40
	v_mov_b32_e32 v0, v41
	;; [unrolled: 1-line block ×3, first 2 shown]
	s_getpc_b64 s[0:1]
	s_add_u32 s0, s0, _ZN12_GLOBAL__N_17runRingI12hip_bfloat168FuncProdIS1_E11ProtoSimpleILi1ELi1ELi0ELi2ELi0ELi0EELi0ELi2ELi0EEEviiP15ncclDevWorkColl@rel32@lo+4
	s_addc_u32 s1, s1, _ZN12_GLOBAL__N_17runRingI12hip_bfloat168FuncProdIS1_E11ProtoSimpleILi1ELi1ELi0ELi2ELi0ELi0EELi0ELi2ELi0EEEviiP15ncclDevWorkColl@rel32@hi+12
	s_swappc_b64 s[30:31], s[0:1]
	s_branch .LBB7_2
.LBB7_8:
	scratch_load_dword v63, off, s33        ; 4-byte Folded Reload
	scratch_load_dword v42, off, s33 offset:4 ; 4-byte Folded Reload
	scratch_load_dword v41, off, s33 offset:8 ; 4-byte Folded Reload
	;; [unrolled: 1-line block ×3, first 2 shown]
	v_readlane_b32 s30, v43, 42
	v_readlane_b32 s31, v43, 43
	;; [unrolled: 1-line block ×45, first 2 shown]
	s_or_saveexec_b64 s[2:3], -1
	scratch_load_dword v43, off, s33 offset:16 ; 4-byte Folded Reload
	s_mov_b64 exec, s[2:3]
	s_addk_i32 s32, 0xffe0
	s_mov_b32 s33, s0
	s_waitcnt vmcnt(0)
	s_setpc_b64 s[30:31]
.Lfunc_end7:
	.size	_Z46ncclDevFunc_Reduce_RING_SIMPLE_Prod_bf16_0_0_2v, .Lfunc_end7-_Z46ncclDevFunc_Reduce_RING_SIMPLE_Prod_bf16_0_0_2v
                                        ; -- End function
	.section	.AMDGPU.csdata,"",@progbits
; Function info:
; codeLenInByte = 1088
; NumSgprs: 82
; NumVgprs: 64
; NumAgprs: 32
; TotalNumVgprs: 96
; ScratchSize: 128
; MemoryBound: 0
	.text
	.p2align	2                               ; -- Begin function _ZN12_GLOBAL__N_17runRingI12hip_bfloat168FuncProdIS1_E11ProtoSimpleILi1ELi1ELi0ELi2ELi0ELi0EELi0ELi2ELi1EEEviiP15ncclDevWorkColl
	.type	_ZN12_GLOBAL__N_17runRingI12hip_bfloat168FuncProdIS1_E11ProtoSimpleILi1ELi1ELi0ELi2ELi0ELi0EELi0ELi2ELi1EEEviiP15ncclDevWorkColl,@function
_ZN12_GLOBAL__N_17runRingI12hip_bfloat168FuncProdIS1_E11ProtoSimpleILi1ELi1ELi0ELi2ELi0ELi0EELi0ELi2ELi1EEEviiP15ncclDevWorkColl: ; @_ZN12_GLOBAL__N_17runRingI12hip_bfloat168FuncProdIS1_E11ProtoSimpleILi1ELi1ELi0ELi2ELi0ELi0EELi0ELi2ELi1EEEviiP15ncclDevWorkColl
; %bb.0:
	s_waitcnt vmcnt(0) expcnt(0) lgkmcnt(0)
	s_mov_b32 s0, s33
	s_mov_b32 s33, s32
	s_or_saveexec_b64 s[2:3], -1
	scratch_store_dword off, v63, s33 offset:208 ; 4-byte Folded Spill
	s_mov_b64 exec, s[2:3]
	v_writelane_b32 v63, s0, 41
	s_addk_i32 s32, 0xe0
	scratch_store_dword off, v40, s33 offset:128 ; 4-byte Folded Spill
	scratch_store_dword off, v41, s33 offset:124 ; 4-byte Folded Spill
	;; [unrolled: 1-line block ×32, first 2 shown]
	scratch_store_dword off, a49, s33       ; 4-byte Folded Spill
	v_writelane_b32 v63, s34, 0
	v_writelane_b32 v63, s35, 1
	;; [unrolled: 1-line block ×40, first 2 shown]
	s_nop 1
	v_writelane_b32 v63, s31, 40
	s_trap 2
	ds_read_b64 v[14:15], v0
	ds_read_b32 v6, v0
	v_mov_b32_e32 v29, v1
                                        ; implicit-def: $vgpr18_vgpr19
                                        ; implicit-def: $vgpr22_vgpr23
                                        ; implicit-def: $vgpr34_vgpr35
	s_waitcnt lgkmcnt(1)
	v_ashrrev_i32_e32 v5, 31, v15
	v_mov_b32_e32 v4, v15
	v_lshlrev_b64 v[4:5], 2, v[4:5]
	v_lshl_add_u64 v[8:9], v[14:15], 0, v[4:5]
	v_add_co_u32_e32 v8, vcc, -4, v8
	flat_load_ushort v17, v[2:3] offset:8
	flat_load_dwordx2 v[4:5], v[2:3]
	v_addc_co_u32_e32 v9, vcc, -1, v9, vcc
	flat_load_dword v1, v[8:9]
	s_waitcnt vmcnt(0) lgkmcnt(0)
	v_mov_b32_e32 v16, v5
	v_cmp_ne_u32_sdwa s[0:1], v4, v6 src0_sel:BYTE_0 src1_sel:DWORD
	s_and_saveexec_b64 s[2:3], s[0:1]
	s_xor_b64 s[0:1], exec, s[2:3]
	s_cbranch_execz .LBB8_6
; %bb.1:
	v_not_b32_sdwa v5, v4 dst_sel:DWORD dst_unused:UNUSED_PAD src0_sel:BYTE_0
	v_cmp_ne_u32_sdwa s[2:3], v4, v6 src0_sel:BYTE_1 src1_sel:DWORD
                                        ; implicit-def: $vgpr18_vgpr19
                                        ; implicit-def: $vgpr22_vgpr23
                                        ; implicit-def: $vgpr34_vgpr35
	s_and_saveexec_b64 s[4:5], s[2:3]
	s_xor_b64 s[2:3], exec, s[4:5]
	s_cbranch_execz .LBB8_3
; %bb.2:
	flat_load_dwordx4 v[8:11], v[2:3] offset:72
	flat_load_dwordx2 v[12:13], v[2:3] offset:96
	v_add_u32_e32 v4, v6, v5
	v_ashrrev_i32_e32 v5, 31, v4
	s_waitcnt vmcnt(0) lgkmcnt(0)
	v_mul_lo_u32 v5, v10, v5
	v_mad_u64_u32 v[34:35], s[4:5], v10, v4, v[8:9]
	v_mul_lo_u32 v4, v11, v4
	v_lshrrev_b64 v[18:19], 13, v[12:13]
	v_add3_u32 v35, v4, v35, v5
	v_mov_b64_e32 v[22:23], v[10:11]
                                        ; implicit-def: $vgpr4
                                        ; implicit-def: $vgpr5
.LBB8_3:
	s_andn2_saveexec_b64 s[2:3], s[2:3]
	s_cbranch_execz .LBB8_5
; %bb.4:
	flat_load_dwordx4 v[6:9], v[2:3] offset:72
	flat_load_dwordx4 v[22:25], v[2:3] offset:88
	v_add_u32_sdwa v4, v4, v5 dst_sel:DWORD dst_unused:UNUSED_PAD src0_sel:BYTE_1 src1_sel:DWORD
	v_ashrrev_i32_e32 v5, 31, v4
	s_waitcnt vmcnt(0) lgkmcnt(0)
	v_mul_lo_u32 v5, v8, v5
	v_mad_u64_u32 v[34:35], s[4:5], v8, v4, v[6:7]
	v_mul_lo_u32 v4, v9, v4
	v_add3_u32 v35, v4, v35, v5
	v_lshrrev_b32_e32 v18, 2, v25
.LBB8_5:
	s_or_b64 exec, exec, s[2:3]
.LBB8_6:
	s_andn2_saveexec_b64 s[0:1], s[0:1]
	s_cbranch_execz .LBB8_8
; %bb.7:
	flat_load_dwordx2 v[4:5], v[2:3] offset:96
	flat_load_dwordx2 v[22:23], v[2:3] offset:72
	v_mov_b64_e32 v[34:35], 0
	s_waitcnt vmcnt(0) lgkmcnt(0)
	v_lshlrev_b64 v[18:19], 8, v[4:5]
.LBB8_8:
	s_or_b64 exec, exec, s[0:1]
	s_trap 2
	ds_read_b64 v[4:5], v0
	s_waitcnt lgkmcnt(0)
	v_cmp_ne_u32_e32 vcc, -1, v4
	s_nop 1
	v_cndmask_b32_e64 v4, 0, 1, vcc
	v_cmp_ne_u32_e32 vcc, -1, v5
	s_nop 1
	v_addc_co_u32_e64 v5, s[0:1], 0, v4, vcc
	v_lshlrev_b32_e32 v6, 1, v5
	v_cmp_le_i32_e64 s[0:1], v6, v29
	s_and_saveexec_b64 s[2:3], s[0:1]
	s_xor_b64 s[24:25], exec, s[2:3]
	s_cbranch_execz .LBB8_1487
; %bb.9:
	flat_load_dwordx4 v[10:13], v[2:3] offset:16
	flat_load_dwordx2 v[20:21], v[2:3] offset:104
	s_trap 2
	s_load_dword s0, s[8:9], 0x0
	v_mov_b32_e32 v2, 0
	v_mov_b32_e32 v62, 4
	s_waitcnt lgkmcnt(0)
	s_cmp_lt_u32 s12, s0
	s_cselect_b32 s0, 12, 18
	s_add_u32 s0, s8, s0
	s_addc_u32 s1, s9, 0
	global_load_ushort a2, v2, s[0:1]
	ds_read_b32 v2, v0
	v_cmp_ge_i32_e64 s[0:1], v0, v4
	s_waitcnt lgkmcnt(0)
	v_readfirstlane_b32 s6, v2
	s_and_saveexec_b64 s[2:3], s[0:1]
	s_cbranch_execz .LBB8_19
; %bb.10:
	v_cmp_le_u32_e64 s[0:1], v5, v0
                                        ; implicit-def: $vgpr62
	s_and_saveexec_b64 s[4:5], s[0:1]
	s_xor_b64 s[0:1], exec, s[4:5]
	s_cbranch_execz .LBB8_16
; %bb.11:
	v_cndmask_b32_e64 v2, 0, 1, vcc
	v_sub_u32_e32 v2, v29, v2
	v_cmp_ge_u32_e32 vcc, v0, v2
                                        ; implicit-def: $sgpr7
	s_and_saveexec_b64 s[4:5], vcc
	s_xor_b64 s[4:5], exec, s[4:5]
; %bb.12:
	s_mov_b32 s7, 16
                                        ; implicit-def: $vgpr5
; %bb.13:
	s_or_saveexec_b64 s[4:5], s[4:5]
	v_mov_b32_e32 v62, s7
	s_xor_b64 exec, exec, s[4:5]
; %bb.14:
	v_sub_u32_e32 v2, v29, v5
	v_cmp_ge_i32_e32 vcc, v0, v2
	s_nop 1
	v_cndmask_b32_e64 v2, 0, 1, vcc
	v_lshlrev_b32_e32 v62, 5, v2
; %bb.15:
	s_or_b64 exec, exec, s[4:5]
.LBB8_16:
	s_andn2_saveexec_b64 s[0:1], s[0:1]
; %bb.17:
	v_mov_b32_e32 v62, 8
; %bb.18:
	s_or_b64 exec, exec, s[0:1]
.LBB8_19:
	s_or_b64 exec, exec, s[2:3]
	v_and_b32_e32 v2, 36, v62
	v_cmp_ne_u32_e32 vcc, 0, v2
	v_mov_b32_e32 v2, -1
	s_and_saveexec_b64 s[0:1], vcc
	s_cbranch_execz .LBB8_21
; %bb.20:
	s_trap 2
	ds_read_b32 v2, v0
.LBB8_21:
	s_or_b64 exec, exec, s[0:1]
	v_and_b32_e32 v3, 24, v62
	v_cmp_ne_u32_e64 s[0:1], 0, v3
	s_and_saveexec_b64 s[2:3], s[0:1]
	s_cbranch_execz .LBB8_23
; %bb.22:
	s_trap 2
	s_waitcnt lgkmcnt(0)
	ds_read_b32 v2, v0
.LBB8_23:
	s_or_b64 exec, exec, s[2:3]
	v_lshrrev_b64 v[6:7], 31, v[16:17]
	v_mov_b64_e32 v[36:37], 0
	v_and_b32_e32 v5, 3, v6
	s_waitcnt lgkmcnt(0)
	v_ashrrev_i32_e32 v3, 31, v2
	v_mov_b64_e32 v[48:49], v[36:37]
                                        ; implicit-def: $agpr8_agpr9
                                        ; implicit-def: $agpr16
                                        ; implicit-def: $vgpr46_vgpr47
                                        ; implicit-def: $agpr18_agpr19
                                        ; implicit-def: $vgpr42_vgpr43
	s_and_saveexec_b64 s[0:1], vcc
	s_cbranch_execz .LBB8_33
; %bb.24:
	s_trap 2
	ds_read_b64 v[6:7], v0
	v_and_b32_e32 v8, 0xffff, v5
	s_movk_i32 s2, 0xa8
                                        ; implicit-def: $agpr8_agpr9
	s_waitcnt lgkmcnt(0)
	v_lshl_add_u64 v[6:7], v[2:3], 3, v[6:7]
	flat_load_dwordx2 v[6:7], v[6:7]
	s_waitcnt vmcnt(0) lgkmcnt(0)
	v_mad_u64_u32 v[6:7], s[2:3], v8, s2, v[6:7]
	flat_load_dword v8, v[6:7] offset:640
	s_mov_b64 s[2:3], 0x1f8
	v_lshl_add_u64 v[36:37], v[6:7], 0, s[2:3]
	s_waitcnt vmcnt(0) lgkmcnt(0)
	v_cmp_eq_u32_e32 vcc, 1, v8
	s_and_saveexec_b64 s[2:3], vcc
	s_cbranch_execz .LBB8_26
; %bb.25:
	flat_load_dwordx2 v[8:9], v[36:37] offset:144
	v_or_b32_e32 v62, 0x2000, v62
	s_waitcnt vmcnt(0) lgkmcnt(0)
	flat_load_dwordx2 v[6:7], v[8:9]
	s_trap 2
	v_accvgpr_write_b32 a8, v8
	v_accvgpr_write_b32 a9, v9
	s_waitcnt vmcnt(0) lgkmcnt(0)
	ds_write_b64 v0, v[6:7]
	flat_load_dwordx2 v[6:7], v[8:9] offset:8
	s_waitcnt vmcnt(0) lgkmcnt(0)
	ds_write_b64 v0, v[6:7]
	flat_load_dwordx2 v[6:7], v[8:9] offset:16
	s_waitcnt vmcnt(0) lgkmcnt(0)
	ds_write_b64 v0, v[6:7]
.LBB8_26:
	s_or_b64 exec, exec, s[2:3]
	flat_load_dwordx2 v[50:51], v[36:37] offset:104
	v_and_b32_e32 v6, 32, v62
	v_cmp_ne_u32_e32 vcc, 0, v6
                                        ; implicit-def: $vgpr42_vgpr43
	s_and_saveexec_b64 s[2:3], vcc
	s_cbranch_execz .LBB8_28
; %bb.27:
	flat_load_dwordx2 v[42:43], v[36:37] offset:56
	s_waitcnt vmcnt(0) lgkmcnt(0)
	flat_store_dwordx2 v[42:43], v[50:51] sc0 sc1
.LBB8_28:
	s_or_b64 exec, exec, s[2:3]
	v_and_b32_e32 v6, 4, v62
	v_cmp_ne_u32_e32 vcc, 0, v6
	v_mov_b64_e32 v[48:49], 0
                                        ; implicit-def: $agpr16
                                        ; implicit-def: $vgpr46_vgpr47
                                        ; implicit-def: $agpr18_agpr19
	s_and_saveexec_b64 s[2:3], vcc
	s_cbranch_execz .LBB8_32
; %bb.29:
	v_and_b32_e32 v6, 0x800, v62
	v_cmp_eq_u32_e32 vcc, 0, v6
	s_and_saveexec_b64 s[4:5], vcc
	s_cbranch_execz .LBB8_31
; %bb.30:
	s_trap 2
	ds_write_b64 v0, v[36:37]
.LBB8_31:
	s_or_b64 exec, exec, s[4:5]
	flat_load_dwordx2 v[42:43], v[36:37] offset:48
	v_or_b32_e32 v7, 0x100, v62
	s_waitcnt vmcnt(0) lgkmcnt(0)
	flat_load_dwordx2 v[46:47], v[42:43] sc0 sc1
	flat_load_dword v6, v[36:37] offset:72
	flat_load_dwordx2 v[48:49], v[36:37] offset:96
	flat_load_dwordx2 a[18:19], v[36:37] offset:16
	s_waitcnt vmcnt(0) lgkmcnt(0)
	v_ashrrev_i32_e32 v6, 1, v6
	v_cmp_eq_u64_e32 vcc, 0, v[48:49]
	v_accvgpr_write_b32 a16, v6
	s_nop 0
	v_cndmask_b32_e32 v62, v7, v62, vcc
.LBB8_32:
	s_or_b64 exec, exec, s[2:3]
.LBB8_33:
	s_or_b64 exec, exec, s[0:1]
	v_and_b32_e32 v6, 24, v62
	v_cmp_ne_u32_e32 vcc, 0, v6
                                        ; implicit-def: $agpr24_agpr25
	s_and_saveexec_b64 s[0:1], vcc
	s_cbranch_execz .LBB8_41
; %bb.34:
	s_trap 2
	ds_read_b64 v[6:7], v0
	v_and_b32_e32 v5, 0xffff, v5
	s_movk_i32 s2, 0xa8
                                        ; implicit-def: $agpr24_agpr25
	s_waitcnt lgkmcnt(0)
	v_lshl_add_u64 v[2:3], v[2:3], 3, v[6:7]
	flat_load_dwordx2 v[2:3], v[2:3]
	s_waitcnt vmcnt(0) lgkmcnt(0)
	v_mad_u64_u32 v[36:37], s[2:3], v5, s2, v[2:3]
	flat_load_dwordx4 v[48:51], v[36:37] offset:96
	v_or_b32_e32 v2, 0x100, v62
	s_waitcnt vmcnt(0) lgkmcnt(0)
	v_cmp_eq_u64_e32 vcc, 0, v[48:49]
	s_nop 1
	v_cndmask_b32_e32 v62, v2, v62, vcc
	v_and_b32_e32 v2, 16, v62
	v_cmp_ne_u32_e32 vcc, 0, v2
	s_and_saveexec_b64 s[2:3], vcc
	s_cbranch_execz .LBB8_36
; %bb.35:
	flat_load_dwordx2 a[24:25], v[36:37] offset:120
	flat_load_dwordx2 v[42:43], v[36:37] offset:48
	;; [unrolled: 1-line block ×3, first 2 shown]
.LBB8_36:
	s_or_b64 exec, exec, s[2:3]
	v_and_b32_e32 v2, 8, v62
	v_cmp_ne_u32_e32 vcc, 0, v2
	s_and_saveexec_b64 s[2:3], vcc
	s_cbranch_execz .LBB8_40
; %bb.37:
	v_and_b32_e32 v2, 0x800, v62
	v_cmp_eq_u32_e32 vcc, 0, v2
	s_and_saveexec_b64 s[4:5], vcc
	s_cbranch_execz .LBB8_39
; %bb.38:
	s_trap 2
	ds_write_b64 v0, v[36:37]
.LBB8_39:
	s_or_b64 exec, exec, s[4:5]
	s_waitcnt vmcnt(0) lgkmcnt(0)
	flat_load_dwordx2 v[42:43], v[36:37] offset:56
	s_waitcnt vmcnt(0) lgkmcnt(0)
	flat_load_dwordx2 v[46:47], v[42:43] sc0 sc1
	flat_load_dword v2, v[36:37] offset:72
	flat_load_dwordx2 a[18:19], v[36:37] offset:16
	s_waitcnt vmcnt(0) lgkmcnt(0)
	v_ashrrev_i32_e32 v2, 1, v2
	v_accvgpr_write_b32 a16, v2
.LBB8_40:
	s_or_b64 exec, exec, s[2:3]
.LBB8_41:
	s_or_b64 exec, exec, s[0:1]
	v_cmp_eq_u32_e64 s[0:1], 0, v0
	s_and_saveexec_b64 s[2:3], s[0:1]
	s_cbranch_execz .LBB8_43
; %bb.42:
	s_waitcnt vmcnt(0)
	v_mov_b32_e32 v2, v12
	v_mov_b32_e32 v3, v13
	;; [unrolled: 1-line block ×4, first 2 shown]
	ds_write2_b64 v0, v[2:3], v[6:7] offset1:1
	v_mov_b32_e32 v2, 0
	v_mov_b32_e32 v3, v2
	s_trap 2
	ds_write_b64 v0, v[2:3]
	ds_write_b64 v0, v[20:21]
.LBB8_43:
	s_or_b64 exec, exec, s[2:3]
	s_ashr_i32 s2, s6, 31
	s_lshr_b32 s2, s2, 29
	s_add_i32 s6, s6, s2
	v_bfe_u32 v2, v16, 1, 30
	v_and_b32_e32 v44, 0x1fffff00, v18
	v_mov_b32_e32 v45, 0
	s_ashr_i32 s66, s6, 4
	v_cmp_ne_u32_e32 vcc, v1, v2
                                        ; implicit-def: $vgpr38_vgpr39
	s_and_saveexec_b64 s[2:3], vcc
	s_xor_b64 s[26:27], exec, s[2:3]
	s_cbranch_execz .LBB8_1249
; %bb.44:
	v_cmp_ne_u32_e32 vcc, v14, v2
	v_cmp_ne_u64_e64 s[2:3], 0, v[22:23]
                                        ; implicit-def: $vgpr38_vgpr39
	s_and_saveexec_b64 s[4:5], vcc
	s_xor_b64 s[28:29], exec, s[4:5]
	s_cbranch_execz .LBB8_650
; %bb.45:
	v_mov_b64_e32 v[38:39], 0
	s_and_saveexec_b64 s[30:31], s[2:3]
	s_cbranch_execz .LBB8_649
; %bb.46:
	s_waitcnt vmcnt(0)
	v_accvgpr_read_b32 v1, a2
	v_cmp_ne_u32_sdwa s[34:35], v1, v29 src0_sel:WORD_0 src1_sel:DWORD
	v_and_b32_e32 v1, 63, v31
	v_cmp_eq_u32_e64 s[10:11], 0, v1
	v_ashrrev_i32_e32 v1, 31, v0
	v_lshrrev_b32_e32 v1, 26, v1
	s_lshr_b32 s4, s66, 27
	v_accvgpr_read_b32 v2, a16
	v_add_u32_e32 v1, v0, v1
	s_add_i32 s4, s66, s4
	v_ashrrev_i32_e32 v41, 31, v2
	v_and_b32_e32 v2, 0xffffffc0, v1
	s_ashr_i32 s67, s4, 5
	v_cmp_ge_i32_e64 s[4:5], v0, v29
	v_sub_u32_e32 v0, v0, v2
	v_cmp_le_i32_e64 s[12:13], v0, v4
	v_cmp_lt_i32_e64 s[14:15], v0, v4
	v_ashrrev_i32_e32 v1, 6, v1
	v_accvgpr_write_b32 a3, v0
	v_lshlrev_b32_e32 v0, 4, v0
	v_lshl_add_u32 v0, v1, 11, v0
	v_accvgpr_write_b32 a17, v1
	v_ashrrev_i32_e32 v1, 31, v0
	v_accvgpr_write_b32 a29, v1
	v_lshrrev_b32_e32 v6, 6, v29
	v_accvgpr_write_b32 a28, v0
	v_mov_b32_e32 v0, 0xfffff800
	v_lshl_add_u32 v0, v6, 11, v0
	v_ashrrev_i32_e32 v1, 31, v0
	s_mov_b64 s[36:37], 0x800
	v_accvgpr_write_b32 a31, v1
	v_accvgpr_write_b32 a30, v0
	v_lshl_add_u64 v[0:1], v[0:1], 0, s[36:37]
	v_accvgpr_write_b32 a33, v1
	s_add_i32 s16, s33, 0xb0
	v_accvgpr_write_b32 a32, v0
	v_mov_b32_e32 v0, s16
	s_add_i32 s16, s33, 0x90
	v_add_u32_e32 v30, 16, v0
	v_mov_b32_e32 v0, s16
	v_add_u32_e32 v58, 16, v0
	v_lshlrev_b32_e32 v0, 10, v6
	v_accvgpr_write_b32 a35, v0
	v_add_u32_e32 v0, 0xfffffc00, v0
	v_ashrrev_i32_e32 v1, 31, v0
	s_mov_b64 s[38:39], 0x400
	v_accvgpr_write_b32 a37, v1
	v_mov_b64_e32 v[2:3], v[44:45]
	v_accvgpr_write_b32 a36, v0
	v_lshl_add_u64 v[44:45], v[0:1], 0, s[38:39]
	s_waitcnt lgkmcnt(0)
	v_accvgpr_read_b32 v0, a24
	v_accvgpr_read_b32 v1, a25
	v_cmp_eq_u64_e64 s[16:17], 0, v[0:1]
	v_lshlrev_b32_e32 v0, 7, v6
	v_add_u32_e32 v4, 0xffffff80, v0
	v_ashrrev_i32_e32 v5, 31, v4
	v_mov_b32_e32 v55, 0
	s_mov_b64 s[42:43], 0x80
	v_accvgpr_write_b32 a41, v5
	v_mov_b32_e32 v7, v55
	v_accvgpr_write_b32 a40, v4
	v_lshl_add_u64 v[4:5], v[4:5], 0, s[42:43]
	v_mov_b64_e32 v[56:57], 0
	v_accvgpr_write_b32 a12, v48
	v_accvgpr_write_b32 a10, v36
	;; [unrolled: 1-line block ×3, first 2 shown]
	v_cmp_eq_u32_e32 vcc, 64, v29
	v_accvgpr_write_b32 a27, v7
	v_accvgpr_write_b32 a43, v5
	;; [unrolled: 1-line block ×8, first 2 shown]
	v_cmp_ne_u32_e64 s[6:7], 64, v29
	s_mov_b64 s[40:41], 0
	v_accvgpr_write_b32 a26, v6
	v_accvgpr_write_b32 a42, v4
	s_movk_i32 s68, 0x270e
	s_movk_i32 s69, 0x108
	v_mov_b32_e32 v12, 1
	s_xor_b64 s[44:45], vcc, -1
	s_mov_b32 s70, 0x7f800000
	s_movk_i32 s71, 0x7fff
	s_mov_b32 s72, 0xffff0000
	v_accvgpr_write_b32 a21, v57
	v_accvgpr_write_b32 a34, v30
	v_accvgpr_write_b32 a38, v0
	s_trap 2
	s_branch .LBB8_49
.LBB8_47:                               ;   in Loop: Header=BB8_49 Depth=1
	s_or_b64 exec, exec, s[18:19]
.LBB8_48:                               ;   in Loop: Header=BB8_49 Depth=1
	s_or_b64 exec, exec, s[20:21]
	v_accvgpr_read_b32 v2, a22
	v_accvgpr_read_b32 v3, a23
	;; [unrolled: 1-line block ×3, first 2 shown]
	v_lshl_add_u64 v[56:57], v[56:57], 0, v[2:3]
	v_accvgpr_read_b32 v22, a4
	v_cmp_ge_u64_e32 vcc, v[56:57], v[22:23]
	s_or_b64 s[40:41], vcc, s[40:41]
	s_andn2_b64 exec, exec, s[40:41]
	s_cbranch_execz .LBB8_648
.LBB8_49:                               ; =>This Loop Header: Depth=1
                                        ;     Child Loop BB8_58 Depth 2
                                        ;     Child Loop BB8_84 Depth 2
	;; [unrolled: 1-line block ×5, first 2 shown]
                                        ;       Child Loop BB8_328 Depth 3
                                        ;       Child Loop BB8_365 Depth 3
                                        ;     Child Loop BB8_442 Depth 2
                                        ;     Child Loop BB8_549 Depth 2
                                        ;       Child Loop BB8_550 Depth 3
                                        ;       Child Loop BB8_559 Depth 3
                                        ;     Child Loop BB8_580 Depth 2
                                        ;     Child Loop BB8_605 Depth 2
                                        ;     Child Loop BB8_631 Depth 2
	v_sub_co_u32_e32 v0, vcc, v22, v56
	v_accvgpr_write_b32 a4, v22
	s_nop 0
	v_subb_co_u32_e32 v1, vcc, v23, v57, vcc
	v_cmp_lt_u64_e32 vcc, v[2:3], v[0:1]
	v_accvgpr_write_b32 a23, v3
	v_accvgpr_write_b32 a5, v23
	v_cndmask_b32_e64 v15, v1, 0, vcc
	v_cndmask_b32_e32 v14, v0, v2, vcc
	v_add_u32_e32 v0, 15, v14
	v_cmp_eq_u64_e32 vcc, 0, v[14:15]
	v_and_b32_e32 v0, 0x3ffffff0, v0
	s_or_b64 s[46:47], s[4:5], vcc
	v_accvgpr_write_b32 a22, v2
	v_max_i32_e32 v20, s67, v0
	s_xor_b64 s[18:19], s[46:47], -1
	v_mov_b32_e32 v4, 0
	s_and_saveexec_b64 s[48:49], s[18:19]
	s_cbranch_execz .LBB8_598
; %bb.50:                               ;   in Loop: Header=BB8_49 Depth=1
	s_and_saveexec_b64 s[18:19], s[0:1]
	s_cbranch_execz .LBB8_52
; %bb.51:                               ;   in Loop: Header=BB8_49 Depth=1
	s_trap 2
	ds_read_b64 v[0:1], v0
	v_accvgpr_read_b32 v2, a6
	v_accvgpr_read_b32 v3, a7
	v_mov_b32_e32 v54, v55
	s_waitcnt lgkmcnt(0)
	v_lshl_add_u64 v[0:1], v[2:3], 1, v[0:1]
	v_lshl_add_u64 v[0:1], v[56:57], 1, v[0:1]
	ds_write_b64 v0, v[0:1]
	ds_write_b64 v0, v[54:55]
.LBB8_52:                               ;   in Loop: Header=BB8_49 Depth=1
	s_or_b64 exec, exec, s[18:19]
	v_and_b32_e32 v0, 12, v62
	v_cmp_ne_u32_e32 vcc, 0, v0
	v_accvgpr_read_b32 v0, a12
	v_accvgpr_read_b32 v1, a13
	;; [unrolled: 1-line block ×4, first 2 shown]
	s_mov_b64 s[20:21], -1
	v_lshl_add_u64 v[0:1], v[2:3], 0, 1
	s_and_saveexec_b64 s[18:19], vcc
	s_cbranch_execz .LBB8_64
; %bb.53:                               ;   in Loop: Header=BB8_49 Depth=1
	v_accvgpr_read_b32 v6, a12
	v_and_b32_e32 v54, 8, v62
	v_accvgpr_read_b32 v8, a14
	v_accvgpr_read_b32 v9, a15
	v_lshl_add_u64 v[4:5], v[46:47], 0, v[54:55]
	v_lshl_add_u64 v[2:3], v[8:9], 0, 1
	v_cmp_lt_u64_e32 vcc, v[4:5], v[2:3]
	v_mov_b32_e32 v4, 1
	v_accvgpr_read_b32 v7, a13
	s_and_saveexec_b64 s[20:21], vcc
	s_cbranch_execz .LBB8_63
; %bb.54:                               ;   in Loop: Header=BB8_49 Depth=1
	s_mov_b64 s[22:23], 0
	v_mov_b32_e32 v4, 0
                                        ; implicit-def: $sgpr50_sgpr51
	s_branch .LBB8_58
.LBB8_55:                               ;   in Loop: Header=BB8_58 Depth=2
	s_or_b64 exec, exec, s[58:59]
	v_mov_b32_e32 v5, 0
	s_orn2_b64 s[56:57], s[56:57], exec
.LBB8_56:                               ;   in Loop: Header=BB8_58 Depth=2
	s_or_b64 exec, exec, s[54:55]
	s_andn2_b64 vcc, s[50:51], exec
	s_and_b64 s[50:51], s[56:57], exec
	s_or_b64 s[50:51], vcc, s[50:51]
	v_mov_b32_e32 v4, v5
.LBB8_57:                               ;   in Loop: Header=BB8_58 Depth=2
	s_or_b64 exec, exec, s[52:53]
	s_waitcnt vmcnt(0) lgkmcnt(0)
	v_lshl_add_u64 v[6:7], v[46:47], 0, v[54:55]
	v_cmp_ge_u64_e32 vcc, v[6:7], v[2:3]
	s_xor_b64 s[52:53], s[50:51], -1
	s_or_b64 vcc, s[52:53], vcc
	s_and_b64 vcc, exec, vcc
	s_or_b64 s[22:23], vcc, s[22:23]
	s_andn2_b64 exec, exec, s[22:23]
	s_cbranch_execz .LBB8_62
.LBB8_58:                               ;   Parent Loop BB8_49 Depth=1
                                        ; =>  This Inner Loop Header: Depth=2
	s_sleep 1
	flat_load_dwordx2 v[46:47], v[42:43] sc0 sc1
	v_and_b32_e32 v5, 64, v62
	v_cmp_eq_u32_e32 vcc, 0, v5
	s_andn2_b64 s[50:51], s[50:51], exec
	s_and_saveexec_b64 s[52:53], vcc
	s_cbranch_execz .LBB8_57
; %bb.59:                               ;   in Loop: Header=BB8_58 Depth=2
	v_add_u32_e32 v5, 1, v4
	v_cmp_lt_i32_e32 vcc, s68, v4
	s_mov_b64 s[56:57], -1
	s_and_saveexec_b64 s[54:55], vcc
	s_cbranch_execz .LBB8_56
; %bb.60:                               ;   in Loop: Header=BB8_58 Depth=2
	s_trap 2
	ds_read_b64 v[4:5], v0
	s_waitcnt vmcnt(0) lgkmcnt(0)
	flat_load_dword v4, v[4:5] sc0 sc1
	s_waitcnt vmcnt(0) lgkmcnt(0)
	buffer_inv sc0 sc1
	v_cmp_ne_u32_e32 vcc, 0, v4
	s_and_saveexec_b64 s[58:59], vcc
	s_cbranch_execz .LBB8_55
; %bb.61:                               ;   in Loop: Header=BB8_58 Depth=2
	v_or_b32_e32 v62, 64, v62
	s_xor_b64 s[56:57], exec, -1
	ds_write_b32 v0, v4
	s_trap 2
	s_branch .LBB8_55
.LBB8_62:                               ;   in Loop: Header=BB8_49 Depth=1
	s_or_b64 exec, exec, s[22:23]
	v_and_b32_e32 v4, 12, v62
.LBB8_63:                               ;   in Loop: Header=BB8_49 Depth=1
	s_or_b64 exec, exec, s[20:21]
	v_cmp_eq_u32_e32 vcc, 0, v4
	s_orn2_b64 s[20:21], vcc, exec
	;;#ASMSTART
	s_wakeup
	;;#ASMEND
.LBB8_64:                               ;   in Loop: Header=BB8_49 Depth=1
	s_or_b64 exec, exec, s[18:19]
	s_xor_b64 s[18:19], s[20:21], -1
	v_min_u32_e32 v20, v20, v14
	s_and_saveexec_b64 s[20:21], s[18:19]
	s_cbranch_execz .LBB8_76
; %bb.65:                               ;   in Loop: Header=BB8_49 Depth=1
	v_and_b32_e32 v2, 0x108, v62
	v_cmp_ne_u32_e32 vcc, s69, v2
	v_accvgpr_read_b32 v2, a12
	v_accvgpr_read_b32 v4, a14
	v_and_b32_e32 v2, 7, v4
	v_accvgpr_read_b32 v3, a13
	s_and_saveexec_b64 s[18:19], vcc
	s_xor_b64 s[18:19], exec, s[18:19]
	s_andn2_saveexec_b64 s[18:19], s[18:19]
	s_cbranch_execz .LBB8_67
; %bb.66:                               ;   in Loop: Header=BB8_49 Depth=1
	v_accvgpr_read_b32 v4, a12
	v_accvgpr_read_b32 v5, a13
	v_mad_u64_u32 v[4:5], s[22:23], v2, 24, v[4:5]
	v_lshlrev_b32_e32 v6, 1, v20
	v_mov_b32_e32 v7, v55
	flat_store_dwordx2 v[4:5], v[6:7] offset:8
.LBB8_67:                               ;   in Loop: Header=BB8_49 Depth=1
	s_or_b64 exec, exec, s[18:19]
	v_and_b32_e32 v3, 0x100, v62
	v_cmp_ne_u32_e32 vcc, 0, v3
	s_mov_b64 s[18:19], -1
                                        ; implicit-def: $vgpr4_vgpr5
	s_and_saveexec_b64 s[22:23], vcc
	s_cbranch_execz .LBB8_71
; %bb.68:                               ;   in Loop: Header=BB8_49 Depth=1
	v_accvgpr_read_b32 v4, a12
	v_accvgpr_read_b32 v5, a13
	v_mad_u64_u32 v[8:9], s[18:19], v2, 24, v[4:5]
	v_mov_b32_e32 v4, v9
	v_mad_u64_u32 v[4:5], s[18:19], v55, 24, v[4:5]
	v_mov_b32_e32 v9, v4
	flat_load_dword v3, v[8:9]
                                        ; implicit-def: $vgpr4_vgpr5
	s_waitcnt vmcnt(0) lgkmcnt(0)
	v_cmp_ne_u32_e32 vcc, 1, v3
	v_cmp_eq_u32_e64 s[18:19], 1, v3
	s_and_saveexec_b64 s[50:51], s[18:19]
	s_cbranch_execz .LBB8_70
; %bb.69:                               ;   in Loop: Header=BB8_49 Depth=1
	flat_load_dword v4, v[8:9] offset:4 sc0 sc1
	s_waitcnt vmcnt(0) lgkmcnt(0)
	v_ashrrev_i32_e32 v5, 31, v4
	v_lshrrev_b64 v[4:5], 1, v[4:5]
.LBB8_70:                               ;   in Loop: Header=BB8_49 Depth=1
	s_or_b64 exec, exec, s[50:51]
	s_orn2_b64 s[18:19], vcc, exec
.LBB8_71:                               ;   in Loop: Header=BB8_49 Depth=1
	s_or_b64 exec, exec, s[22:23]
	s_and_saveexec_b64 s[22:23], s[18:19]
; %bb.72:                               ;   in Loop: Header=BB8_49 Depth=1
	v_accvgpr_read_b32 v4, a16
	v_mul_lo_u32 v3, v55, v4
	v_mul_lo_u32 v6, v2, v41
	v_mad_u64_u32 v[4:5], s[18:19], v2, v4, 0
	v_add3_u32 v5, v5, v6, v3
; %bb.73:                               ;   in Loop: Header=BB8_49 Depth=1
	s_or_b64 exec, exec, s[22:23]
	v_accvgpr_read_b32 v2, a18
	v_accvgpr_read_b32 v3, a19
	v_lshl_add_u64 v[2:3], v[4:5], 1, v[2:3]
	s_trap 2
	ds_write_b64 v0, v[2:3]
	v_and_b32_e32 v2, 0x2000, v62
	v_cmp_ne_u32_e32 vcc, 0, v2
	s_and_saveexec_b64 s[18:19], vcc
	s_cbranch_execz .LBB8_75
; %bb.74:                               ;   in Loop: Header=BB8_49 Depth=1
	ds_read_b64 v[2:3], v0 offset:584
	s_waitcnt lgkmcnt(0)
	v_lshl_add_u64 v[2:3], v[2:3], 0, 1
	ds_write_b64 v0, v[2:3] offset:584
.LBB8_75:                               ;   in Loop: Header=BB8_49 Depth=1
	s_or_b64 exec, exec, s[18:19]
	v_accvgpr_write_b32 a15, v1
	v_accvgpr_write_b32 a14, v0
.LBB8_76:                               ;   in Loop: Header=BB8_49 Depth=1
	s_or_b64 exec, exec, s[20:21]
	s_and_saveexec_b64 s[18:19], s[6:7]
	s_cbranch_execz .LBB8_95
; %bb.77:                               ;   in Loop: Header=BB8_49 Depth=1
	s_and_saveexec_b64 s[20:21], s[34:35]
	s_xor_b64 s[20:21], exec, s[20:21]
	s_cbranch_execz .LBB8_92
; %bb.78:                               ;   in Loop: Header=BB8_49 Depth=1
	s_and_saveexec_b64 s[22:23], s[10:11]
	s_cbranch_execz .LBB8_91
; %bb.79:                               ;   in Loop: Header=BB8_49 Depth=1
	s_mov_b64 s[52:53], exec
	v_mbcnt_lo_u32_b32 v0, s52, 0
	v_mbcnt_hi_u32_b32 v0, s53, v0
	v_cmp_eq_u32_e32 vcc, 0, v0
	s_waitcnt lgkmcnt(0)
	s_and_saveexec_b64 s[50:51], vcc
	s_cbranch_execz .LBB8_81
; %bb.80:                               ;   in Loop: Header=BB8_49 Depth=1
	s_bcnt1_i32_b64 vcc_lo, s[52:53]
	v_mov_b32_e32 v54, vcc_lo
	ds_add_u64 v0, v[54:55]
	s_trap 2
.LBB8_81:                               ;   in Loop: Header=BB8_49 Depth=1
	s_or_b64 exec, exec, s[50:51]
	s_trap 2
	ds_read_b64 v[0:1], v0
	v_accvgpr_read_b32 v2, a20
	v_accvgpr_read_b32 v4, a26
	;; [unrolled: 1-line block ×4, first 2 shown]
	v_lshl_add_u64 v[2:3], v[2:3], 0, v[4:5]
	v_accvgpr_write_b32 a21, v3
	v_accvgpr_write_b32 a20, v2
	s_waitcnt lgkmcnt(0)
	v_cmp_lt_u64_e32 vcc, v[0:1], v[2:3]
	s_and_saveexec_b64 s[50:51], vcc
	s_cbranch_execz .LBB8_90
; %bb.82:                               ;   in Loop: Header=BB8_49 Depth=1
	s_mov_b32 s62, 0
	s_mov_b64 s[52:53], 0
                                        ; implicit-def: $sgpr54_sgpr55
                                        ; implicit-def: $sgpr56_sgpr57
	s_branch .LBB8_84
.LBB8_83:                               ;   in Loop: Header=BB8_84 Depth=2
	s_or_b64 exec, exec, s[60:61]
	s_and_b64 vcc, exec, vcc
	s_or_b64 s[52:53], vcc, s[52:53]
	s_andn2_b64 vcc, s[54:55], exec
	s_and_b64 s[54:55], s[56:57], exec
	s_or_b64 s[54:55], vcc, s[54:55]
	s_andn2_b64 exec, exec, s[52:53]
	s_cbranch_execz .LBB8_88
.LBB8_84:                               ;   Parent Loop BB8_49 Depth=1
                                        ; =>  This Inner Loop Header: Depth=2
	s_add_i32 s62, s62, 1
	s_cmpk_lg_i32 s62, 0x2710
	s_cselect_b64 s[58:59], -1, 0
	s_and_b64 vcc, exec, s[58:59]
                                        ; implicit-def: $sgpr60_sgpr61
	s_cbranch_vccnz .LBB8_86
; %bb.85:                               ;   in Loop: Header=BB8_84 Depth=2
	s_trap 2
	ds_read_b64 v[0:1], v0
	s_andn2_b64 s[58:59], s[58:59], exec
	s_mov_b32 s62, 0
	s_mov_b64 s[60:61], -1
	s_waitcnt vmcnt(0) lgkmcnt(0)
	flat_load_dword v0, v[0:1] sc0 sc1
	s_waitcnt vmcnt(0) lgkmcnt(0)
	buffer_inv sc0 sc1
	v_cmp_eq_u32_e32 vcc, 0, v0
	s_and_b64 vcc, vcc, exec
	s_or_b64 s[58:59], s[58:59], vcc
.LBB8_86:                               ;   in Loop: Header=BB8_84 Depth=2
	s_andn2_b64 s[56:57], s[56:57], exec
	s_and_b64 s[60:61], s[60:61], exec
	s_mov_b64 vcc, -1
	s_or_b64 s[56:57], s[56:57], s[60:61]
	s_and_saveexec_b64 s[60:61], s[58:59]
	s_cbranch_execz .LBB8_83
; %bb.87:                               ;   in Loop: Header=BB8_84 Depth=2
	s_sleep 1
	s_trap 2
	ds_read_b64 v[0:1], v0
	v_accvgpr_read_b32 v2, a20
	v_accvgpr_read_b32 v3, a21
	s_andn2_b64 s[56:57], s[56:57], exec
	s_waitcnt lgkmcnt(0)
	v_cmp_ge_u64_e32 vcc, v[0:1], v[2:3]
	s_orn2_b64 vcc, vcc, exec
	s_branch .LBB8_83
.LBB8_88:                               ;   in Loop: Header=BB8_49 Depth=1
	s_or_b64 exec, exec, s[52:53]
	s_and_saveexec_b64 vcc, s[54:55]
	s_xor_b64 vcc, exec, vcc
	s_cbranch_execz .LBB8_90
; %bb.89:                               ;   in Loop: Header=BB8_49 Depth=1
	ds_write_b32 v0, v12
	s_trap 2
.LBB8_90:                               ;   in Loop: Header=BB8_49 Depth=1
	s_or_b64 exec, exec, s[50:51]
	;;#ASMSTART
	s_wakeup
	;;#ASMEND
.LBB8_91:                               ;   in Loop: Header=BB8_49 Depth=1
	s_or_b64 exec, exec, s[22:23]
.LBB8_92:                               ;   in Loop: Header=BB8_49 Depth=1
	s_andn2_saveexec_b64 s[20:21], s[20:21]
	s_cbranch_execz .LBB8_94
; %bb.93:                               ;   in Loop: Header=BB8_49 Depth=1
	s_waitcnt lgkmcnt(0)
	s_barrier
.LBB8_94:                               ;   in Loop: Header=BB8_49 Depth=1
	s_or_b64 exec, exec, s[20:21]
.LBB8_95:                               ;   in Loop: Header=BB8_49 Depth=1
	s_or_b64 exec, exec, s[18:19]
	s_trap 2
	ds_read_b32 v0, v0
	v_and_b32_e32 v1, 0x4000, v62
	v_cmp_ne_u32_e32 vcc, 0, v1
	s_and_b64 s[20:21], s[44:45], vcc
	s_and_saveexec_b64 s[18:19], s[20:21]
	s_cbranch_execz .LBB8_114
; %bb.96:                               ;   in Loop: Header=BB8_49 Depth=1
	s_and_saveexec_b64 s[20:21], s[34:35]
	s_xor_b64 s[20:21], exec, s[20:21]
	s_cbranch_execz .LBB8_111
; %bb.97:                               ;   in Loop: Header=BB8_49 Depth=1
	s_and_saveexec_b64 s[22:23], s[10:11]
	s_cbranch_execz .LBB8_110
; %bb.98:                               ;   in Loop: Header=BB8_49 Depth=1
	s_mov_b64 s[52:53], exec
	v_mbcnt_lo_u32_b32 v1, s52, 0
	v_mbcnt_hi_u32_b32 v1, s53, v1
	v_cmp_eq_u32_e32 vcc, 0, v1
	s_waitcnt lgkmcnt(0)
	s_and_saveexec_b64 s[50:51], vcc
	s_cbranch_execz .LBB8_100
; %bb.99:                               ;   in Loop: Header=BB8_49 Depth=1
	s_bcnt1_i32_b64 vcc_lo, s[52:53]
	v_mov_b32_e32 v54, vcc_lo
	ds_add_u64 v0, v[54:55]
	s_trap 2
.LBB8_100:                              ;   in Loop: Header=BB8_49 Depth=1
	s_or_b64 exec, exec, s[50:51]
	s_trap 2
	ds_read_b64 v[2:3], v0
	v_accvgpr_read_b32 v4, a20
	v_accvgpr_read_b32 v6, a26
	;; [unrolled: 1-line block ×4, first 2 shown]
	v_lshl_add_u64 v[4:5], v[4:5], 0, v[6:7]
	v_accvgpr_write_b32 a21, v5
	v_accvgpr_write_b32 a20, v4
	s_waitcnt lgkmcnt(0)
	v_cmp_lt_u64_e32 vcc, v[2:3], v[4:5]
	s_and_saveexec_b64 s[50:51], vcc
	s_cbranch_execz .LBB8_109
; %bb.101:                              ;   in Loop: Header=BB8_49 Depth=1
	s_mov_b32 s62, 0
	s_mov_b64 s[52:53], 0
                                        ; implicit-def: $sgpr54_sgpr55
                                        ; implicit-def: $sgpr56_sgpr57
	s_branch .LBB8_103
.LBB8_102:                              ;   in Loop: Header=BB8_103 Depth=2
	s_or_b64 exec, exec, s[60:61]
	s_and_b64 vcc, exec, vcc
	s_or_b64 s[52:53], vcc, s[52:53]
	s_andn2_b64 vcc, s[54:55], exec
	s_and_b64 s[54:55], s[56:57], exec
	s_or_b64 s[54:55], vcc, s[54:55]
	s_andn2_b64 exec, exec, s[52:53]
	s_cbranch_execz .LBB8_107
.LBB8_103:                              ;   Parent Loop BB8_49 Depth=1
                                        ; =>  This Inner Loop Header: Depth=2
	s_add_i32 s62, s62, 1
	s_cmpk_lg_i32 s62, 0x2710
	s_cselect_b64 s[58:59], -1, 0
	s_and_b64 vcc, exec, s[58:59]
                                        ; implicit-def: $sgpr60_sgpr61
	s_cbranch_vccnz .LBB8_105
; %bb.104:                              ;   in Loop: Header=BB8_103 Depth=2
	s_trap 2
	ds_read_b64 v[2:3], v0
	s_andn2_b64 s[58:59], s[58:59], exec
	s_mov_b32 s62, 0
	s_mov_b64 s[60:61], -1
	s_waitcnt vmcnt(0) lgkmcnt(0)
	flat_load_dword v1, v[2:3] sc0 sc1
	s_waitcnt vmcnt(0) lgkmcnt(0)
	buffer_inv sc0 sc1
	v_cmp_eq_u32_e32 vcc, 0, v1
	s_and_b64 vcc, vcc, exec
	s_or_b64 s[58:59], s[58:59], vcc
.LBB8_105:                              ;   in Loop: Header=BB8_103 Depth=2
	s_andn2_b64 s[56:57], s[56:57], exec
	s_and_b64 s[60:61], s[60:61], exec
	s_mov_b64 vcc, -1
	s_or_b64 s[56:57], s[56:57], s[60:61]
	s_and_saveexec_b64 s[60:61], s[58:59]
	s_cbranch_execz .LBB8_102
; %bb.106:                              ;   in Loop: Header=BB8_103 Depth=2
	s_sleep 1
	s_trap 2
	ds_read_b64 v[2:3], v0
	v_accvgpr_read_b32 v4, a20
	v_accvgpr_read_b32 v5, a21
	s_andn2_b64 s[56:57], s[56:57], exec
	s_waitcnt lgkmcnt(0)
	v_cmp_ge_u64_e32 vcc, v[2:3], v[4:5]
	s_orn2_b64 vcc, vcc, exec
	s_branch .LBB8_102
.LBB8_107:                              ;   in Loop: Header=BB8_49 Depth=1
	s_or_b64 exec, exec, s[52:53]
	s_and_saveexec_b64 vcc, s[54:55]
	s_xor_b64 vcc, exec, vcc
	s_cbranch_execz .LBB8_109
; %bb.108:                              ;   in Loop: Header=BB8_49 Depth=1
	ds_write_b32 v0, v12
	s_trap 2
.LBB8_109:                              ;   in Loop: Header=BB8_49 Depth=1
	s_or_b64 exec, exec, s[50:51]
	;;#ASMSTART
	s_wakeup
	;;#ASMEND
.LBB8_110:                              ;   in Loop: Header=BB8_49 Depth=1
	s_or_b64 exec, exec, s[22:23]
.LBB8_111:                              ;   in Loop: Header=BB8_49 Depth=1
	s_andn2_saveexec_b64 s[20:21], s[20:21]
	s_cbranch_execz .LBB8_113
; %bb.112:                              ;   in Loop: Header=BB8_49 Depth=1
	s_waitcnt lgkmcnt(0)
	s_barrier
.LBB8_113:                              ;   in Loop: Header=BB8_49 Depth=1
	s_or_b64 exec, exec, s[20:21]
.LBB8_114:                              ;   in Loop: Header=BB8_49 Depth=1
	s_or_b64 exec, exec, s[18:19]
	s_trap 2
	s_waitcnt lgkmcnt(0)
	ds_read_b64 v[2:3], v0
	s_waitcnt lgkmcnt(0)
	v_readfirstlane_b32 s18, v2
	v_readfirstlane_b32 s19, v3
	s_cmp_eq_u64 s[18:19], 0
	s_cselect_b64 s[18:19], -1, 0
	s_or_b64 s[20:21], s[18:19], s[18:19]
	s_mov_b64 s[18:19], 0
	s_and_b64 vcc, exec, s[20:21]
	s_cbranch_vccnz .LBB8_572
; %bb.115:                              ;   in Loop: Header=BB8_49 Depth=1
	s_mov_b64 s[18:19], -1
	s_and_saveexec_b64 s[20:21], s[12:13]
	s_cbranch_execz .LBB8_117
; %bb.116:                              ;   in Loop: Header=BB8_49 Depth=1
	ds_read_b32 v1, v0 offset:720
	s_waitcnt lgkmcnt(0)
	v_and_b32_e32 v1, 15, v1
	v_cmp_eq_u32_e32 vcc, 0, v1
	s_orn2_b64 s[18:19], vcc, exec
.LBB8_117:                              ;   in Loop: Header=BB8_49 Depth=1
	s_or_b64 exec, exec, s[20:21]
	s_and_saveexec_b64 s[20:21], s[14:15]
	s_cbranch_execz .LBB8_119
; %bb.118:                              ;   in Loop: Header=BB8_49 Depth=1
	ds_read_b32 v1, v0 offset:784
	s_waitcnt lgkmcnt(0)
	v_and_b32_e32 v1, 15, v1
	v_cmp_eq_u32_e32 vcc, 0, v1
	s_and_b64 s[22:23], s[18:19], vcc
	s_andn2_b64 s[18:19], s[18:19], exec
	s_and_b64 s[22:23], s[22:23], exec
	s_or_b64 s[18:19], s[18:19], s[22:23]
.LBB8_119:                              ;   in Loop: Header=BB8_49 Depth=1
	s_or_b64 exec, exec, s[20:21]
	s_xor_b64 s[18:19], s[18:19], -1
	v_cmp_eq_u32_e32 vcc, 0, v0
	v_cndmask_b32_e64 v0, 0, 1, s[18:19]
	;;#ASMSTART
	;;#ASMEND
	s_trap 2
	ds_read_b64 v[2:3], v0
	v_cndmask_b32_e32 v1, 0, v20, vcc
	v_accvgpr_write_b32 a44, v14
	v_mov_b32_e32 v12, 0
	v_lshlrev_b32_e32 v60, 1, v1
	s_mov_b64 s[18:19], -1
	v_cmp_ne_u32_e32 vcc, 0, v0
	s_cbranch_vccz .LBB8_121
; %bb.120:                              ;   in Loop: Header=BB8_49 Depth=1
	s_waitcnt lgkmcnt(0)
	v_accvgpr_write_b32 a49, v3
	v_accvgpr_write_b32 a48, v2
	;; [unrolled: 1-line block ×3, first 2 shown]
	v_accvgpr_read_b32 v13, a3
	v_accvgpr_read_b32 v0, a17
	s_and_saveexec_b64 s[22:23], s[18:19]
	s_cbranch_execnz .LBB8_439
	s_branch .LBB8_571
.LBB8_121:                              ;   in Loop: Header=BB8_49 Depth=1
	v_accvgpr_write_b32 a45, v1
	v_lshrrev_b32_e32 v1, 10, v1
	v_accvgpr_read_b32 v0, a17
	v_accvgpr_write_b32 a47, v1
	v_sub_u32_e32 v54, v1, v0
	v_accvgpr_read_b32 v0, a28
	v_accvgpr_read_b32 v1, a29
	s_waitcnt lgkmcnt(0)
	v_accvgpr_write_b32 a49, v3
	v_accvgpr_write_b32 a46, v60
	;; [unrolled: 1-line block ×4, first 2 shown]
	v_lshl_add_u64 v[0:1], v[2:3], 0, v[0:1]
	v_cmp_lt_i32_e32 vcc, 0, v54
	s_mov_b64 s[20:21], 0
                                        ; implicit-def: $vgpr22_vgpr23
                                        ; implicit-def: $vgpr18_vgpr19
                                        ; implicit-def: $vgpr14_vgpr15
                                        ; implicit-def: $vgpr10_vgpr11
	s_and_saveexec_b64 s[18:19], vcc
	s_cbranch_execz .LBB8_257
; %bb.122:                              ;   in Loop: Header=BB8_49 Depth=1
	s_trap 2
	ds_read_b128 v[2:5], v0
	v_accvgpr_read_b32 v6, a28
	v_accvgpr_read_b32 v7, a29
	v_accvgpr_write_b32 a1, v31
	v_accvgpr_write_b32 a0, v29
	s_mov_b64 s[50:51], 0
	s_waitcnt lgkmcnt(0)
	v_lshl_add_u64 v[2:3], v[2:3], 0, v[6:7]
	v_lshl_add_u64 v[30:31], v[4:5], 0, v[6:7]
                                        ; implicit-def: $sgpr22_sgpr23
                                        ; implicit-def: $vgpr12_vgpr13
                                        ; implicit-def: $vgpr16_vgpr17
                                        ; implicit-def: $vgpr20_vgpr21
                                        ; implicit-def: $vgpr24_vgpr25
	s_branch .LBB8_124
.LBB8_123:                              ;   in Loop: Header=BB8_124 Depth=2
	s_or_b64 exec, exec, s[52:53]
	v_lshrrev_b32_e32 v2, 16, v37
	v_and_or_b32 v33, v48, s72, v2
	v_lshrrev_b32_e32 v2, 16, v59
	v_and_or_b32 v32, v36, s72, v2
	;; [unrolled: 2-line block ×8, first 2 shown]
	v_accvgpr_read_b32 v4, a30
	v_accvgpr_read_b32 v5, a31
	v_lshl_add_u64 v[2:3], v[60:61], 0, v[4:5]
	v_lshl_add_u64 v[4:5], v[30:31], 0, v[4:5]
	v_cndmask_b32_e64 v31, v31, v5, s[50:51]
	v_cndmask_b32_e64 v30, v30, v4, s[50:51]
	v_accvgpr_read_b32 v4, a26
	v_cndmask_b32_e64 v4, 0, v4, s[50:51]
	v_sub_u32_e32 v54, v54, v4
	global_store_dwordx4 v[0:1], v[32:35], off nt
	global_store_dwordx4 v[0:1], v[6:9], off offset:1024 nt
	v_cmp_gt_i32_e32 vcc, 1, v54
	s_or_b64 s[20:21], vcc, s[20:21]
	v_accvgpr_read_b32 v6, a32
	v_accvgpr_read_b32 v7, a33
	v_mov_b32_e32 v8, 0x800
	v_cndmask_b32_e64 v7, 0, v7, s[50:51]
	v_cndmask_b32_e64 v6, v8, v6, s[50:51]
	s_andn2_b64 s[22:23], s[22:23], exec
	s_and_b64 vcc, s[50:51], exec
	v_lshl_add_u64 v[0:1], v[0:1], 0, v[6:7]
	v_cndmask_b32_e64 v3, v61, v3, s[50:51]
	v_cndmask_b32_e64 v2, v60, v2, s[50:51]
	s_or_b64 s[22:23], s[22:23], vcc
	v_accvgpr_read_b32 v5, a27
	s_andn2_b64 exec, exec, s[20:21]
	s_cbranch_execz .LBB8_256
.LBB8_124:                              ;   Parent Loop BB8_49 Depth=1
                                        ; =>  This Inner Loop Header: Depth=2
	global_load_dwordx4 v[48:51], v[2:3], off nt
	global_load_dwordx4 v[32:35], v[2:3], off offset:1024 nt
	global_load_dwordx4 v[36:39], v[30:31], off nt
	global_load_dwordx4 v[26:29], v[30:31], off offset:1024 nt
	s_and_saveexec_b64 s[52:53], s[50:51]
	s_cbranch_execz .LBB8_190
; %bb.125:                              ;   in Loop: Header=BB8_124 Depth=2
	v_lshlrev_b32_e32 v4, 16, v22
	v_lshlrev_b32_e32 v6, 16, v18
	v_pk_mul_f32 v[4:5], v[4:5], v[6:7] op_sel_hi:[0,1]
	v_and_b32_e32 v5, 0x7f800000, v4
	v_cmp_ne_u32_e32 vcc, s70, v5
                                        ; implicit-def: $vgpr60
	s_and_saveexec_b64 s[50:51], vcc
	s_xor_b64 vcc, exec, s[50:51]
; %bb.126:                              ;   in Loop: Header=BB8_124 Depth=2
	v_bfe_u32 v5, v4, 16, 1
	v_add3_u32 v60, v4, v5, s71
                                        ; implicit-def: $vgpr4_vgpr5
; %bb.127:                              ;   in Loop: Header=BB8_124 Depth=2
	s_andn2_saveexec_b64 s[50:51], vcc
; %bb.128:                              ;   in Loop: Header=BB8_124 Depth=2
	v_or_b32_e32 v5, 0x10000, v4
	v_cmp_eq_u32_sdwa vcc, v4, v55 src0_sel:WORD_0 src1_sel:DWORD
	s_nop 1
	v_cndmask_b32_e32 v60, v5, v4, vcc
; %bb.129:                              ;   in Loop: Header=BB8_124 Depth=2
	s_or_b64 exec, exec, s[50:51]
	v_mov_b32_e32 v4, v18
	v_mov_b32_e32 v5, v22
	v_and_b32_e32 v6, 0xffff0000, v5
	v_and_b32_e32 v4, 0xffff0000, v4
	v_pk_mul_f32 v[4:5], v[6:7], v[4:5] op_sel_hi:[0,1]
	v_and_b32_e32 v5, 0x7f800000, v4
	v_cmp_ne_u32_e32 vcc, s70, v5
                                        ; implicit-def: $vgpr22
	s_and_saveexec_b64 s[50:51], vcc
	s_xor_b64 vcc, exec, s[50:51]
; %bb.130:                              ;   in Loop: Header=BB8_124 Depth=2
	v_bfe_u32 v5, v4, 16, 1
	v_add3_u32 v22, v4, v5, s71
                                        ; implicit-def: $vgpr4_vgpr5
; %bb.131:                              ;   in Loop: Header=BB8_124 Depth=2
	s_andn2_saveexec_b64 s[50:51], vcc
; %bb.132:                              ;   in Loop: Header=BB8_124 Depth=2
	v_or_b32_e32 v5, 0x10000, v4
	v_cmp_eq_u32_sdwa vcc, v4, v55 src0_sel:WORD_0 src1_sel:DWORD
	s_nop 1
	v_cndmask_b32_e32 v22, v5, v4, vcc
; %bb.133:                              ;   in Loop: Header=BB8_124 Depth=2
	s_or_b64 exec, exec, s[50:51]
	v_lshlrev_b32_e32 v4, 16, v23
	v_lshlrev_b32_e32 v6, 16, v19
	v_pk_mul_f32 v[4:5], v[4:5], v[6:7] op_sel_hi:[0,1]
	v_and_b32_e32 v5, 0x7f800000, v4
	v_cmp_ne_u32_e32 vcc, s70, v5
                                        ; implicit-def: $vgpr59
	s_and_saveexec_b64 s[50:51], vcc
	s_xor_b64 vcc, exec, s[50:51]
; %bb.134:                              ;   in Loop: Header=BB8_124 Depth=2
	v_bfe_u32 v5, v4, 16, 1
	v_add3_u32 v59, v4, v5, s71
                                        ; implicit-def: $vgpr4_vgpr5
; %bb.135:                              ;   in Loop: Header=BB8_124 Depth=2
	s_andn2_saveexec_b64 s[50:51], vcc
; %bb.136:                              ;   in Loop: Header=BB8_124 Depth=2
	v_or_b32_e32 v5, 0x10000, v4
	v_cmp_eq_u32_sdwa vcc, v4, v55 src0_sel:WORD_0 src1_sel:DWORD
	s_nop 1
	v_cndmask_b32_e32 v59, v5, v4, vcc
; %bb.137:                              ;   in Loop: Header=BB8_124 Depth=2
	s_or_b64 exec, exec, s[50:51]
	v_mov_b32_e32 v4, v19
	v_and_b32_e32 v6, 0xffff0000, v23
	v_and_b32_e32 v4, 0xffff0000, v4
	v_pk_mul_f32 v[4:5], v[6:7], v[4:5] op_sel_hi:[0,1]
	v_and_b32_e32 v5, 0x7f800000, v4
	v_cmp_ne_u32_e32 vcc, s70, v5
                                        ; implicit-def: $vgpr23
	s_and_saveexec_b64 s[50:51], vcc
	s_xor_b64 vcc, exec, s[50:51]
; %bb.138:                              ;   in Loop: Header=BB8_124 Depth=2
	v_bfe_u32 v5, v4, 16, 1
	v_add3_u32 v23, v4, v5, s71
                                        ; implicit-def: $vgpr4_vgpr5
; %bb.139:                              ;   in Loop: Header=BB8_124 Depth=2
	s_andn2_saveexec_b64 s[50:51], vcc
; %bb.140:                              ;   in Loop: Header=BB8_124 Depth=2
	v_or_b32_e32 v5, 0x10000, v4
	v_cmp_eq_u32_sdwa vcc, v4, v55 src0_sel:WORD_0 src1_sel:DWORD
	s_nop 1
	v_cndmask_b32_e32 v23, v5, v4, vcc
; %bb.141:                              ;   in Loop: Header=BB8_124 Depth=2
	s_or_b64 exec, exec, s[50:51]
	v_lshlrev_b32_e32 v4, 16, v24
	v_lshlrev_b32_e32 v6, 16, v20
	v_pk_mul_f32 v[4:5], v[4:5], v[6:7] op_sel_hi:[0,1]
	v_and_b32_e32 v5, 0x7f800000, v4
	v_cmp_ne_u32_e32 vcc, s70, v5
                                        ; implicit-def: $vgpr61
	s_and_saveexec_b64 s[50:51], vcc
	s_xor_b64 vcc, exec, s[50:51]
; %bb.142:                              ;   in Loop: Header=BB8_124 Depth=2
	v_bfe_u32 v5, v4, 16, 1
	v_add3_u32 v61, v4, v5, s71
                                        ; implicit-def: $vgpr4_vgpr5
; %bb.143:                              ;   in Loop: Header=BB8_124 Depth=2
	s_andn2_saveexec_b64 s[50:51], vcc
; %bb.144:                              ;   in Loop: Header=BB8_124 Depth=2
	v_or_b32_e32 v5, 0x10000, v4
	v_cmp_eq_u32_sdwa vcc, v4, v55 src0_sel:WORD_0 src1_sel:DWORD
	s_nop 1
	v_cndmask_b32_e32 v61, v5, v4, vcc
; %bb.145:                              ;   in Loop: Header=BB8_124 Depth=2
	s_or_b64 exec, exec, s[50:51]
	v_mov_b32_e32 v4, v20
	v_mov_b32_e32 v5, v24
	v_and_b32_e32 v6, 0xffff0000, v5
	v_and_b32_e32 v4, 0xffff0000, v4
	v_pk_mul_f32 v[4:5], v[6:7], v[4:5] op_sel_hi:[0,1]
	v_and_b32_e32 v5, 0x7f800000, v4
	v_cmp_ne_u32_e32 vcc, s70, v5
                                        ; implicit-def: $vgpr24
	s_and_saveexec_b64 s[50:51], vcc
	s_xor_b64 vcc, exec, s[50:51]
; %bb.146:                              ;   in Loop: Header=BB8_124 Depth=2
	v_bfe_u32 v5, v4, 16, 1
	v_add3_u32 v24, v4, v5, s71
                                        ; implicit-def: $vgpr4_vgpr5
; %bb.147:                              ;   in Loop: Header=BB8_124 Depth=2
	s_andn2_saveexec_b64 s[50:51], vcc
; %bb.148:                              ;   in Loop: Header=BB8_124 Depth=2
	v_or_b32_e32 v5, 0x10000, v4
	v_cmp_eq_u32_sdwa vcc, v4, v55 src0_sel:WORD_0 src1_sel:DWORD
	s_nop 1
	v_cndmask_b32_e32 v24, v5, v4, vcc
; %bb.149:                              ;   in Loop: Header=BB8_124 Depth=2
	s_or_b64 exec, exec, s[50:51]
	v_lshlrev_b32_e32 v4, 16, v25
	v_lshlrev_b32_e32 v6, 16, v21
	v_pk_mul_f32 v[4:5], v[4:5], v[6:7] op_sel_hi:[0,1]
	v_and_b32_e32 v5, 0x7f800000, v4
	v_cmp_ne_u32_e32 vcc, s70, v5
                                        ; implicit-def: $vgpr52
	s_and_saveexec_b64 s[50:51], vcc
	s_xor_b64 vcc, exec, s[50:51]
; %bb.150:                              ;   in Loop: Header=BB8_124 Depth=2
	v_bfe_u32 v5, v4, 16, 1
	v_add3_u32 v52, v4, v5, s71
                                        ; implicit-def: $vgpr4_vgpr5
; %bb.151:                              ;   in Loop: Header=BB8_124 Depth=2
	s_andn2_saveexec_b64 s[50:51], vcc
; %bb.152:                              ;   in Loop: Header=BB8_124 Depth=2
	v_or_b32_e32 v5, 0x10000, v4
	v_cmp_eq_u32_sdwa vcc, v4, v55 src0_sel:WORD_0 src1_sel:DWORD
	s_nop 1
	v_cndmask_b32_e32 v52, v5, v4, vcc
; %bb.153:                              ;   in Loop: Header=BB8_124 Depth=2
	s_or_b64 exec, exec, s[50:51]
	v_mov_b32_e32 v4, v21
	v_and_b32_e32 v6, 0xffff0000, v25
	v_and_b32_e32 v4, 0xffff0000, v4
	v_pk_mul_f32 v[4:5], v[6:7], v[4:5] op_sel_hi:[0,1]
	v_and_b32_e32 v5, 0x7f800000, v4
	v_cmp_ne_u32_e32 vcc, s70, v5
                                        ; implicit-def: $vgpr25
	s_and_saveexec_b64 s[50:51], vcc
	s_xor_b64 vcc, exec, s[50:51]
; %bb.154:                              ;   in Loop: Header=BB8_124 Depth=2
	v_bfe_u32 v5, v4, 16, 1
	v_add3_u32 v25, v4, v5, s71
                                        ; implicit-def: $vgpr4_vgpr5
; %bb.155:                              ;   in Loop: Header=BB8_124 Depth=2
	s_andn2_saveexec_b64 s[50:51], vcc
; %bb.156:                              ;   in Loop: Header=BB8_124 Depth=2
	v_or_b32_e32 v5, 0x10000, v4
	v_cmp_eq_u32_sdwa vcc, v4, v55 src0_sel:WORD_0 src1_sel:DWORD
	s_nop 1
	v_cndmask_b32_e32 v25, v5, v4, vcc
; %bb.157:                              ;   in Loop: Header=BB8_124 Depth=2
	s_or_b64 exec, exec, s[50:51]
	v_lshlrev_b32_e32 v4, 16, v14
	v_lshlrev_b32_e32 v6, 16, v10
	v_pk_mul_f32 v[4:5], v[4:5], v[6:7] op_sel_hi:[0,1]
	v_and_b32_e32 v5, 0x7f800000, v4
	v_cmp_ne_u32_e32 vcc, s70, v5
                                        ; implicit-def: $vgpr53
	s_and_saveexec_b64 s[50:51], vcc
	s_xor_b64 vcc, exec, s[50:51]
; %bb.158:                              ;   in Loop: Header=BB8_124 Depth=2
	v_bfe_u32 v5, v4, 16, 1
	v_add3_u32 v53, v4, v5, s71
                                        ; implicit-def: $vgpr4_vgpr5
; %bb.159:                              ;   in Loop: Header=BB8_124 Depth=2
	s_andn2_saveexec_b64 s[50:51], vcc
; %bb.160:                              ;   in Loop: Header=BB8_124 Depth=2
	v_or_b32_e32 v5, 0x10000, v4
	v_cmp_eq_u32_sdwa vcc, v4, v55 src0_sel:WORD_0 src1_sel:DWORD
	s_nop 1
	v_cndmask_b32_e32 v53, v5, v4, vcc
; %bb.161:                              ;   in Loop: Header=BB8_124 Depth=2
	s_or_b64 exec, exec, s[50:51]
	v_mov_b32_e32 v4, v10
	v_mov_b32_e32 v5, v14
	v_and_b32_e32 v6, 0xffff0000, v5
	v_and_b32_e32 v4, 0xffff0000, v4
	v_pk_mul_f32 v[4:5], v[6:7], v[4:5] op_sel_hi:[0,1]
	v_and_b32_e32 v5, 0x7f800000, v4
	v_cmp_ne_u32_e32 vcc, s70, v5
                                        ; implicit-def: $vgpr14
	s_and_saveexec_b64 s[50:51], vcc
	s_xor_b64 vcc, exec, s[50:51]
; %bb.162:                              ;   in Loop: Header=BB8_124 Depth=2
	v_bfe_u32 v5, v4, 16, 1
	v_add3_u32 v14, v4, v5, s71
                                        ; implicit-def: $vgpr4_vgpr5
; %bb.163:                              ;   in Loop: Header=BB8_124 Depth=2
	s_andn2_saveexec_b64 s[50:51], vcc
; %bb.164:                              ;   in Loop: Header=BB8_124 Depth=2
	v_or_b32_e32 v5, 0x10000, v4
	v_cmp_eq_u32_sdwa vcc, v4, v55 src0_sel:WORD_0 src1_sel:DWORD
	s_nop 1
	v_cndmask_b32_e32 v14, v5, v4, vcc
; %bb.165:                              ;   in Loop: Header=BB8_124 Depth=2
	s_or_b64 exec, exec, s[50:51]
	v_lshlrev_b32_e32 v4, 16, v15
	v_lshlrev_b32_e32 v6, 16, v11
	v_pk_mul_f32 v[4:5], v[4:5], v[6:7] op_sel_hi:[0,1]
	v_and_b32_e32 v5, 0x7f800000, v4
	v_cmp_ne_u32_e32 vcc, s70, v5
                                        ; implicit-def: $vgpr6
	s_and_saveexec_b64 s[50:51], vcc
	s_xor_b64 vcc, exec, s[50:51]
; %bb.166:                              ;   in Loop: Header=BB8_124 Depth=2
	v_bfe_u32 v5, v4, 16, 1
	v_add3_u32 v6, v4, v5, s71
                                        ; implicit-def: $vgpr4_vgpr5
; %bb.167:                              ;   in Loop: Header=BB8_124 Depth=2
	s_andn2_saveexec_b64 s[50:51], vcc
; %bb.168:                              ;   in Loop: Header=BB8_124 Depth=2
	v_or_b32_e32 v5, 0x10000, v4
	v_cmp_eq_u32_sdwa vcc, v4, v55 src0_sel:WORD_0 src1_sel:DWORD
	s_nop 1
	v_cndmask_b32_e32 v6, v5, v4, vcc
; %bb.169:                              ;   in Loop: Header=BB8_124 Depth=2
	s_or_b64 exec, exec, s[50:51]
	v_mov_b32_e32 v4, v11
	v_and_b32_e32 v8, 0xffff0000, v15
	v_and_b32_e32 v4, 0xffff0000, v4
	v_pk_mul_f32 v[4:5], v[8:9], v[4:5] op_sel_hi:[0,1]
	v_and_b32_e32 v5, 0x7f800000, v4
	v_cmp_ne_u32_e32 vcc, s70, v5
                                        ; implicit-def: $vgpr7
	s_and_saveexec_b64 s[50:51], vcc
	s_xor_b64 vcc, exec, s[50:51]
; %bb.170:                              ;   in Loop: Header=BB8_124 Depth=2
	v_bfe_u32 v5, v4, 16, 1
	v_add3_u32 v7, v4, v5, s71
                                        ; implicit-def: $vgpr4_vgpr5
; %bb.171:                              ;   in Loop: Header=BB8_124 Depth=2
	s_andn2_saveexec_b64 s[50:51], vcc
; %bb.172:                              ;   in Loop: Header=BB8_124 Depth=2
	v_or_b32_e32 v5, 0x10000, v4
	v_cmp_eq_u32_sdwa vcc, v4, v55 src0_sel:WORD_0 src1_sel:DWORD
	s_nop 1
	v_cndmask_b32_e32 v7, v5, v4, vcc
; %bb.173:                              ;   in Loop: Header=BB8_124 Depth=2
	s_or_b64 exec, exec, s[50:51]
	v_lshlrev_b32_e32 v4, 16, v16
	v_lshlrev_b32_e32 v8, 16, v12
	v_pk_mul_f32 v[4:5], v[4:5], v[8:9] op_sel_hi:[0,1]
	v_and_b32_e32 v5, 0x7f800000, v4
	v_cmp_ne_u32_e32 vcc, s70, v5
                                        ; implicit-def: $vgpr8
	s_and_saveexec_b64 s[50:51], vcc
	s_xor_b64 vcc, exec, s[50:51]
; %bb.174:                              ;   in Loop: Header=BB8_124 Depth=2
	v_bfe_u32 v5, v4, 16, 1
	v_add3_u32 v8, v4, v5, s71
                                        ; implicit-def: $vgpr4_vgpr5
; %bb.175:                              ;   in Loop: Header=BB8_124 Depth=2
	s_andn2_saveexec_b64 s[50:51], vcc
; %bb.176:                              ;   in Loop: Header=BB8_124 Depth=2
	v_or_b32_e32 v5, 0x10000, v4
	v_cmp_eq_u32_sdwa vcc, v4, v55 src0_sel:WORD_0 src1_sel:DWORD
	s_nop 1
	v_cndmask_b32_e32 v8, v5, v4, vcc
; %bb.177:                              ;   in Loop: Header=BB8_124 Depth=2
	s_or_b64 exec, exec, s[50:51]
	v_mov_b32_e32 v4, v12
	v_mov_b32_e32 v5, v16
	v_and_b32_e32 v16, 0xffff0000, v5
	v_and_b32_e32 v4, 0xffff0000, v4
	v_pk_mul_f32 v[4:5], v[16:17], v[4:5] op_sel_hi:[0,1]
	v_and_b32_e32 v5, 0x7f800000, v4
	v_cmp_ne_u32_e32 vcc, s70, v5
                                        ; implicit-def: $vgpr9
	s_and_saveexec_b64 s[50:51], vcc
	s_xor_b64 vcc, exec, s[50:51]
; %bb.178:                              ;   in Loop: Header=BB8_124 Depth=2
	v_bfe_u32 v5, v4, 16, 1
	v_add3_u32 v9, v4, v5, s71
                                        ; implicit-def: $vgpr4_vgpr5
; %bb.179:                              ;   in Loop: Header=BB8_124 Depth=2
	s_andn2_saveexec_b64 s[50:51], vcc
; %bb.180:                              ;   in Loop: Header=BB8_124 Depth=2
	v_or_b32_e32 v5, 0x10000, v4
	v_cmp_eq_u32_sdwa vcc, v4, v55 src0_sel:WORD_0 src1_sel:DWORD
	s_nop 1
	v_cndmask_b32_e32 v9, v5, v4, vcc
; %bb.181:                              ;   in Loop: Header=BB8_124 Depth=2
	s_or_b64 exec, exec, s[50:51]
	v_lshlrev_b32_e32 v4, 16, v17
	v_lshlrev_b32_e32 v16, 16, v13
	v_pk_mul_f32 v[4:5], v[4:5], v[16:17] op_sel_hi:[0,1]
	v_and_b32_e32 v5, 0x7f800000, v4
	v_cmp_ne_u32_e32 vcc, s70, v5
                                        ; implicit-def: $vgpr40
	s_and_saveexec_b64 s[50:51], vcc
	s_xor_b64 vcc, exec, s[50:51]
; %bb.182:                              ;   in Loop: Header=BB8_124 Depth=2
	v_bfe_u32 v5, v4, 16, 1
	v_add3_u32 v40, v4, v5, s71
                                        ; implicit-def: $vgpr4_vgpr5
; %bb.183:                              ;   in Loop: Header=BB8_124 Depth=2
	s_andn2_saveexec_b64 s[50:51], vcc
; %bb.184:                              ;   in Loop: Header=BB8_124 Depth=2
	v_or_b32_e32 v5, 0x10000, v4
	v_cmp_eq_u32_sdwa vcc, v4, v55 src0_sel:WORD_0 src1_sel:DWORD
	s_nop 1
	v_cndmask_b32_e32 v40, v5, v4, vcc
; %bb.185:                              ;   in Loop: Header=BB8_124 Depth=2
	s_or_b64 exec, exec, s[50:51]
	v_mov_b32_e32 v4, v13
	v_and_b32_e32 v16, 0xffff0000, v17
	v_and_b32_e32 v4, 0xffff0000, v4
	v_pk_mul_f32 v[4:5], v[16:17], v[4:5] op_sel_hi:[0,1]
	v_and_b32_e32 v5, 0x7f800000, v4
	v_cmp_ne_u32_e32 vcc, s70, v5
                                        ; implicit-def: $vgpr17
	s_and_saveexec_b64 s[50:51], vcc
	s_xor_b64 vcc, exec, s[50:51]
; %bb.186:                              ;   in Loop: Header=BB8_124 Depth=2
	v_bfe_u32 v5, v4, 16, 1
	v_add3_u32 v17, v4, v5, s71
                                        ; implicit-def: $vgpr4_vgpr5
; %bb.187:                              ;   in Loop: Header=BB8_124 Depth=2
	s_andn2_saveexec_b64 s[50:51], vcc
; %bb.188:                              ;   in Loop: Header=BB8_124 Depth=2
	v_or_b32_e32 v5, 0x10000, v4
	v_cmp_eq_u32_sdwa vcc, v4, v55 src0_sel:WORD_0 src1_sel:DWORD
	s_nop 1
	v_cndmask_b32_e32 v17, v5, v4, vcc
; %bb.189:                              ;   in Loop: Header=BB8_124 Depth=2
	s_or_b64 exec, exec, s[50:51]
	v_lshrrev_b32_e32 v4, 16, v59
	v_and_or_b32 v23, v23, s72, v4
	v_lshrrev_b32_e32 v4, 16, v60
	v_and_or_b32 v22, v22, s72, v4
	;; [unrolled: 2-line block ×8, first 2 shown]
	v_accvgpr_read_b32 v4, a32
	v_accvgpr_read_b32 v5, a33
	global_store_dwordx4 v[0:1], v[22:25], off nt
	global_store_dwordx4 v[0:1], v[14:17], off offset:1024 nt
	v_lshl_add_u64 v[0:1], v[0:1], 0, v[4:5]
.LBB8_190:                              ;   in Loop: Header=BB8_124 Depth=2
	s_or_b64 exec, exec, s[52:53]
	v_accvgpr_read_b32 v4, a32
	v_accvgpr_read_b32 v5, a33
	v_lshl_add_u64 v[60:61], v[2:3], 0, v[4:5]
	v_accvgpr_read_b32 v2, a26
	v_sub_u32_e32 v54, v54, v2
	v_lshl_add_u64 v[30:31], v[30:31], 0, v[4:5]
	v_cmp_lt_i32_e64 s[50:51], 0, v54
	v_accvgpr_read_b32 v3, a27
	s_and_saveexec_b64 vcc, s[50:51]
	s_cbranch_execz .LBB8_192
; %bb.191:                              ;   in Loop: Header=BB8_124 Depth=2
	global_load_dwordx4 v[22:25], v[60:61], off nt
	global_load_dwordx4 v[14:17], v[60:61], off offset:1024 nt
	global_load_dwordx4 v[18:21], v[30:31], off nt
	global_load_dwordx4 v[10:13], v[30:31], off offset:1024 nt
	v_lshl_add_u64 v[60:61], v[60:61], 0, s[36:37]
	v_lshl_add_u64 v[30:31], v[30:31], 0, s[36:37]
.LBB8_192:                              ;   in Loop: Header=BB8_124 Depth=2
	s_or_b64 exec, exec, vcc
	s_waitcnt vmcnt(0)
	v_lshlrev_b32_e32 v2, 16, v36
	v_lshlrev_b32_e32 v4, 16, v48
	v_pk_mul_f32 v[2:3], v[2:3], v[4:5] op_sel_hi:[0,1]
	v_and_b32_e32 v3, 0x7f800000, v2
	v_cmp_ne_u32_e32 vcc, s70, v3
                                        ; implicit-def: $vgpr59
	s_and_saveexec_b64 s[52:53], vcc
	s_xor_b64 vcc, exec, s[52:53]
; %bb.193:                              ;   in Loop: Header=BB8_124 Depth=2
	v_bfe_u32 v3, v2, 16, 1
	v_add3_u32 v59, v2, v3, s71
                                        ; implicit-def: $vgpr2_vgpr3
; %bb.194:                              ;   in Loop: Header=BB8_124 Depth=2
	s_andn2_saveexec_b64 s[52:53], vcc
; %bb.195:                              ;   in Loop: Header=BB8_124 Depth=2
	v_or_b32_e32 v3, 0x10000, v2
	v_cmp_eq_u32_sdwa vcc, v2, v55 src0_sel:WORD_0 src1_sel:DWORD
	s_nop 1
	v_cndmask_b32_e32 v59, v3, v2, vcc
; %bb.196:                              ;   in Loop: Header=BB8_124 Depth=2
	s_or_b64 exec, exec, s[52:53]
	v_and_b32_e32 v2, 0xffff0000, v36
	v_and_b32_e32 v4, 0xffff0000, v48
	v_pk_mul_f32 v[2:3], v[2:3], v[4:5] op_sel_hi:[0,1]
	v_and_b32_e32 v3, 0x7f800000, v2
	v_cmp_ne_u32_e32 vcc, s70, v3
                                        ; implicit-def: $vgpr36
	s_and_saveexec_b64 s[52:53], vcc
	s_xor_b64 vcc, exec, s[52:53]
; %bb.197:                              ;   in Loop: Header=BB8_124 Depth=2
	v_bfe_u32 v3, v2, 16, 1
	v_add3_u32 v36, v2, v3, s71
                                        ; implicit-def: $vgpr2_vgpr3
; %bb.198:                              ;   in Loop: Header=BB8_124 Depth=2
	s_andn2_saveexec_b64 s[52:53], vcc
; %bb.199:                              ;   in Loop: Header=BB8_124 Depth=2
	v_or_b32_e32 v3, 0x10000, v2
	v_cmp_eq_u32_sdwa vcc, v2, v55 src0_sel:WORD_0 src1_sel:DWORD
	s_nop 1
	v_cndmask_b32_e32 v36, v3, v2, vcc
; %bb.200:                              ;   in Loop: Header=BB8_124 Depth=2
	s_or_b64 exec, exec, s[52:53]
	v_mov_b32_e32 v3, v37
	v_lshlrev_b32_e32 v2, 16, v3
	v_lshlrev_b32_e32 v4, 16, v49
	v_pk_mul_f32 v[4:5], v[2:3], v[4:5] op_sel_hi:[0,1]
	v_and_b32_e32 v2, 0x7f800000, v4
	v_cmp_ne_u32_e32 vcc, s70, v2
                                        ; implicit-def: $vgpr37
	s_and_saveexec_b64 s[52:53], vcc
	s_xor_b64 vcc, exec, s[52:53]
; %bb.201:                              ;   in Loop: Header=BB8_124 Depth=2
	v_bfe_u32 v2, v4, 16, 1
	v_add3_u32 v37, v4, v2, s71
                                        ; implicit-def: $vgpr4_vgpr5
; %bb.202:                              ;   in Loop: Header=BB8_124 Depth=2
	s_andn2_saveexec_b64 s[52:53], vcc
; %bb.203:                              ;   in Loop: Header=BB8_124 Depth=2
	v_or_b32_e32 v2, 0x10000, v4
	v_cmp_eq_u32_sdwa vcc, v4, v55 src0_sel:WORD_0 src1_sel:DWORD
	s_nop 1
	v_cndmask_b32_e32 v37, v2, v4, vcc
; %bb.204:                              ;   in Loop: Header=BB8_124 Depth=2
	s_or_b64 exec, exec, s[52:53]
	v_and_b32_e32 v2, 0xffff0000, v3
	v_and_b32_e32 v4, 0xffff0000, v49
	v_pk_mul_f32 v[2:3], v[2:3], v[4:5] op_sel_hi:[0,1]
	v_and_b32_e32 v3, 0x7f800000, v2
	v_cmp_ne_u32_e32 vcc, s70, v3
                                        ; implicit-def: $vgpr48
	s_and_saveexec_b64 s[52:53], vcc
	s_xor_b64 vcc, exec, s[52:53]
; %bb.205:                              ;   in Loop: Header=BB8_124 Depth=2
	v_bfe_u32 v3, v2, 16, 1
	v_add3_u32 v48, v2, v3, s71
                                        ; implicit-def: $vgpr2_vgpr3
; %bb.206:                              ;   in Loop: Header=BB8_124 Depth=2
	s_andn2_saveexec_b64 s[52:53], vcc
; %bb.207:                              ;   in Loop: Header=BB8_124 Depth=2
	v_or_b32_e32 v3, 0x10000, v2
	v_cmp_eq_u32_sdwa vcc, v2, v55 src0_sel:WORD_0 src1_sel:DWORD
	s_nop 1
	v_cndmask_b32_e32 v48, v3, v2, vcc
; %bb.208:                              ;   in Loop: Header=BB8_124 Depth=2
	s_or_b64 exec, exec, s[52:53]
	v_lshlrev_b32_e32 v2, 16, v38
	v_lshlrev_b32_e32 v4, 16, v50
	v_pk_mul_f32 v[2:3], v[2:3], v[4:5] op_sel_hi:[0,1]
	v_and_b32_e32 v3, 0x7f800000, v2
	v_cmp_ne_u32_e32 vcc, s70, v3
                                        ; implicit-def: $vgpr49
	s_and_saveexec_b64 s[52:53], vcc
	s_xor_b64 vcc, exec, s[52:53]
; %bb.209:                              ;   in Loop: Header=BB8_124 Depth=2
	v_bfe_u32 v3, v2, 16, 1
	v_add3_u32 v49, v2, v3, s71
                                        ; implicit-def: $vgpr2_vgpr3
; %bb.210:                              ;   in Loop: Header=BB8_124 Depth=2
	s_andn2_saveexec_b64 s[52:53], vcc
; %bb.211:                              ;   in Loop: Header=BB8_124 Depth=2
	v_or_b32_e32 v3, 0x10000, v2
	v_cmp_eq_u32_sdwa vcc, v2, v55 src0_sel:WORD_0 src1_sel:DWORD
	s_nop 1
	v_cndmask_b32_e32 v49, v3, v2, vcc
; %bb.212:                              ;   in Loop: Header=BB8_124 Depth=2
	s_or_b64 exec, exec, s[52:53]
	v_and_b32_e32 v2, 0xffff0000, v38
	v_and_b32_e32 v4, 0xffff0000, v50
	v_pk_mul_f32 v[2:3], v[2:3], v[4:5] op_sel_hi:[0,1]
	v_and_b32_e32 v3, 0x7f800000, v2
	v_cmp_ne_u32_e32 vcc, s70, v3
                                        ; implicit-def: $vgpr38
	s_and_saveexec_b64 s[52:53], vcc
	s_xor_b64 vcc, exec, s[52:53]
; %bb.213:                              ;   in Loop: Header=BB8_124 Depth=2
	v_bfe_u32 v3, v2, 16, 1
	v_add3_u32 v38, v2, v3, s71
                                        ; implicit-def: $vgpr2_vgpr3
; %bb.214:                              ;   in Loop: Header=BB8_124 Depth=2
	s_andn2_saveexec_b64 s[52:53], vcc
; %bb.215:                              ;   in Loop: Header=BB8_124 Depth=2
	v_or_b32_e32 v3, 0x10000, v2
	v_cmp_eq_u32_sdwa vcc, v2, v55 src0_sel:WORD_0 src1_sel:DWORD
	s_nop 1
	v_cndmask_b32_e32 v38, v3, v2, vcc
; %bb.216:                              ;   in Loop: Header=BB8_124 Depth=2
	s_or_b64 exec, exec, s[52:53]
	v_mov_b32_e32 v3, v51
	v_lshlrev_b32_e32 v2, 16, v39
	v_lshlrev_b32_e32 v4, 16, v3
	v_pk_mul_f32 v[4:5], v[2:3], v[4:5] op_sel_hi:[0,1]
	v_and_b32_e32 v2, 0x7f800000, v4
	v_cmp_ne_u32_e32 vcc, s70, v2
                                        ; implicit-def: $vgpr50
	s_and_saveexec_b64 s[52:53], vcc
	s_xor_b64 vcc, exec, s[52:53]
; %bb.217:                              ;   in Loop: Header=BB8_124 Depth=2
	v_bfe_u32 v2, v4, 16, 1
	v_add3_u32 v50, v4, v2, s71
                                        ; implicit-def: $vgpr4_vgpr5
; %bb.218:                              ;   in Loop: Header=BB8_124 Depth=2
	s_andn2_saveexec_b64 s[52:53], vcc
; %bb.219:                              ;   in Loop: Header=BB8_124 Depth=2
	v_or_b32_e32 v2, 0x10000, v4
	v_cmp_eq_u32_sdwa vcc, v4, v55 src0_sel:WORD_0 src1_sel:DWORD
	s_nop 1
	v_cndmask_b32_e32 v50, v2, v4, vcc
; %bb.220:                              ;   in Loop: Header=BB8_124 Depth=2
	s_or_b64 exec, exec, s[52:53]
	v_and_b32_e32 v2, 0xffff0000, v39
	v_and_b32_e32 v4, 0xffff0000, v3
	v_pk_mul_f32 v[2:3], v[2:3], v[4:5] op_sel_hi:[0,1]
	v_and_b32_e32 v3, 0x7f800000, v2
	v_cmp_ne_u32_e32 vcc, s70, v3
                                        ; implicit-def: $vgpr39
	s_and_saveexec_b64 s[52:53], vcc
	s_xor_b64 vcc, exec, s[52:53]
; %bb.221:                              ;   in Loop: Header=BB8_124 Depth=2
	v_bfe_u32 v3, v2, 16, 1
	v_add3_u32 v39, v2, v3, s71
                                        ; implicit-def: $vgpr2_vgpr3
; %bb.222:                              ;   in Loop: Header=BB8_124 Depth=2
	s_andn2_saveexec_b64 s[52:53], vcc
; %bb.223:                              ;   in Loop: Header=BB8_124 Depth=2
	v_or_b32_e32 v3, 0x10000, v2
	v_cmp_eq_u32_sdwa vcc, v2, v55 src0_sel:WORD_0 src1_sel:DWORD
	s_nop 1
	v_cndmask_b32_e32 v39, v3, v2, vcc
; %bb.224:                              ;   in Loop: Header=BB8_124 Depth=2
	s_or_b64 exec, exec, s[52:53]
	v_lshlrev_b32_e32 v2, 16, v26
	v_lshlrev_b32_e32 v4, 16, v32
	v_pk_mul_f32 v[2:3], v[2:3], v[4:5] op_sel_hi:[0,1]
	v_and_b32_e32 v3, 0x7f800000, v2
	v_cmp_ne_u32_e32 vcc, s70, v3
                                        ; implicit-def: $vgpr51
	s_and_saveexec_b64 s[52:53], vcc
	s_xor_b64 vcc, exec, s[52:53]
; %bb.225:                              ;   in Loop: Header=BB8_124 Depth=2
	v_bfe_u32 v3, v2, 16, 1
	v_add3_u32 v51, v2, v3, s71
                                        ; implicit-def: $vgpr2_vgpr3
; %bb.226:                              ;   in Loop: Header=BB8_124 Depth=2
	s_andn2_saveexec_b64 s[52:53], vcc
; %bb.227:                              ;   in Loop: Header=BB8_124 Depth=2
	v_or_b32_e32 v3, 0x10000, v2
	v_cmp_eq_u32_sdwa vcc, v2, v55 src0_sel:WORD_0 src1_sel:DWORD
	s_nop 1
	v_cndmask_b32_e32 v51, v3, v2, vcc
; %bb.228:                              ;   in Loop: Header=BB8_124 Depth=2
	s_or_b64 exec, exec, s[52:53]
	v_and_b32_e32 v2, 0xffff0000, v26
	v_and_b32_e32 v4, 0xffff0000, v32
	v_pk_mul_f32 v[2:3], v[2:3], v[4:5] op_sel_hi:[0,1]
	v_and_b32_e32 v3, 0x7f800000, v2
	v_cmp_ne_u32_e32 vcc, s70, v3
                                        ; implicit-def: $vgpr26
	s_and_saveexec_b64 s[52:53], vcc
	s_xor_b64 vcc, exec, s[52:53]
; %bb.229:                              ;   in Loop: Header=BB8_124 Depth=2
	v_bfe_u32 v3, v2, 16, 1
	v_add3_u32 v26, v2, v3, s71
                                        ; implicit-def: $vgpr2_vgpr3
; %bb.230:                              ;   in Loop: Header=BB8_124 Depth=2
	s_andn2_saveexec_b64 s[52:53], vcc
; %bb.231:                              ;   in Loop: Header=BB8_124 Depth=2
	v_or_b32_e32 v3, 0x10000, v2
	v_cmp_eq_u32_sdwa vcc, v2, v55 src0_sel:WORD_0 src1_sel:DWORD
	s_nop 1
	v_cndmask_b32_e32 v26, v3, v2, vcc
; %bb.232:                              ;   in Loop: Header=BB8_124 Depth=2
	s_or_b64 exec, exec, s[52:53]
	v_mov_b32_e32 v3, v27
	v_lshlrev_b32_e32 v2, 16, v3
	v_lshlrev_b32_e32 v4, 16, v33
	v_pk_mul_f32 v[4:5], v[2:3], v[4:5] op_sel_hi:[0,1]
	v_and_b32_e32 v2, 0x7f800000, v4
	v_cmp_ne_u32_e32 vcc, s70, v2
                                        ; implicit-def: $vgpr6
	s_and_saveexec_b64 s[52:53], vcc
	s_xor_b64 vcc, exec, s[52:53]
; %bb.233:                              ;   in Loop: Header=BB8_124 Depth=2
	v_bfe_u32 v2, v4, 16, 1
	v_add3_u32 v6, v4, v2, s71
                                        ; implicit-def: $vgpr4_vgpr5
; %bb.234:                              ;   in Loop: Header=BB8_124 Depth=2
	s_andn2_saveexec_b64 s[52:53], vcc
; %bb.235:                              ;   in Loop: Header=BB8_124 Depth=2
	v_or_b32_e32 v2, 0x10000, v4
	v_cmp_eq_u32_sdwa vcc, v4, v55 src0_sel:WORD_0 src1_sel:DWORD
	s_nop 1
	v_cndmask_b32_e32 v6, v2, v4, vcc
; %bb.236:                              ;   in Loop: Header=BB8_124 Depth=2
	s_or_b64 exec, exec, s[52:53]
	v_and_b32_e32 v2, 0xffff0000, v3
	v_and_b32_e32 v4, 0xffff0000, v33
	v_pk_mul_f32 v[2:3], v[2:3], v[4:5] op_sel_hi:[0,1]
	v_and_b32_e32 v3, 0x7f800000, v2
	v_cmp_ne_u32_e32 vcc, s70, v3
                                        ; implicit-def: $vgpr7
	s_and_saveexec_b64 s[52:53], vcc
	s_xor_b64 vcc, exec, s[52:53]
; %bb.237:                              ;   in Loop: Header=BB8_124 Depth=2
	v_bfe_u32 v3, v2, 16, 1
	v_add3_u32 v7, v2, v3, s71
                                        ; implicit-def: $vgpr2_vgpr3
; %bb.238:                              ;   in Loop: Header=BB8_124 Depth=2
	s_andn2_saveexec_b64 s[52:53], vcc
; %bb.239:                              ;   in Loop: Header=BB8_124 Depth=2
	v_or_b32_e32 v3, 0x10000, v2
	v_cmp_eq_u32_sdwa vcc, v2, v55 src0_sel:WORD_0 src1_sel:DWORD
	s_nop 1
	v_cndmask_b32_e32 v7, v3, v2, vcc
; %bb.240:                              ;   in Loop: Header=BB8_124 Depth=2
	s_or_b64 exec, exec, s[52:53]
	v_lshlrev_b32_e32 v2, 16, v28
	v_lshlrev_b32_e32 v4, 16, v34
	v_pk_mul_f32 v[2:3], v[2:3], v[4:5] op_sel_hi:[0,1]
	v_and_b32_e32 v3, 0x7f800000, v2
	v_cmp_ne_u32_e32 vcc, s70, v3
                                        ; implicit-def: $vgpr8
	s_and_saveexec_b64 s[52:53], vcc
	s_xor_b64 vcc, exec, s[52:53]
; %bb.241:                              ;   in Loop: Header=BB8_124 Depth=2
	v_bfe_u32 v3, v2, 16, 1
	v_add3_u32 v8, v2, v3, s71
                                        ; implicit-def: $vgpr2_vgpr3
; %bb.242:                              ;   in Loop: Header=BB8_124 Depth=2
	s_andn2_saveexec_b64 s[52:53], vcc
; %bb.243:                              ;   in Loop: Header=BB8_124 Depth=2
	v_or_b32_e32 v3, 0x10000, v2
	v_cmp_eq_u32_sdwa vcc, v2, v55 src0_sel:WORD_0 src1_sel:DWORD
	s_nop 1
	v_cndmask_b32_e32 v8, v3, v2, vcc
; %bb.244:                              ;   in Loop: Header=BB8_124 Depth=2
	s_or_b64 exec, exec, s[52:53]
	v_and_b32_e32 v2, 0xffff0000, v28
	v_and_b32_e32 v4, 0xffff0000, v34
	v_pk_mul_f32 v[2:3], v[2:3], v[4:5] op_sel_hi:[0,1]
	v_and_b32_e32 v3, 0x7f800000, v2
	v_cmp_ne_u32_e32 vcc, s70, v3
                                        ; implicit-def: $vgpr9
	s_and_saveexec_b64 s[52:53], vcc
	s_xor_b64 vcc, exec, s[52:53]
; %bb.245:                              ;   in Loop: Header=BB8_124 Depth=2
	v_bfe_u32 v3, v2, 16, 1
	v_add3_u32 v9, v2, v3, s71
                                        ; implicit-def: $vgpr2_vgpr3
; %bb.246:                              ;   in Loop: Header=BB8_124 Depth=2
	s_andn2_saveexec_b64 s[52:53], vcc
; %bb.247:                              ;   in Loop: Header=BB8_124 Depth=2
	v_or_b32_e32 v3, 0x10000, v2
	v_cmp_eq_u32_sdwa vcc, v2, v55 src0_sel:WORD_0 src1_sel:DWORD
	s_nop 1
	v_cndmask_b32_e32 v9, v3, v2, vcc
; %bb.248:                              ;   in Loop: Header=BB8_124 Depth=2
	s_or_b64 exec, exec, s[52:53]
	v_mov_b32_e32 v3, v35
	v_lshlrev_b32_e32 v2, 16, v29
	v_lshlrev_b32_e32 v4, 16, v3
	v_pk_mul_f32 v[4:5], v[2:3], v[4:5] op_sel_hi:[0,1]
	v_and_b32_e32 v2, 0x7f800000, v4
	v_cmp_ne_u32_e32 vcc, s70, v2
                                        ; implicit-def: $vgpr27
	s_and_saveexec_b64 s[52:53], vcc
	s_xor_b64 vcc, exec, s[52:53]
; %bb.249:                              ;   in Loop: Header=BB8_124 Depth=2
	v_bfe_u32 v2, v4, 16, 1
	v_add3_u32 v27, v4, v2, s71
                                        ; implicit-def: $vgpr4_vgpr5
; %bb.250:                              ;   in Loop: Header=BB8_124 Depth=2
	s_andn2_saveexec_b64 s[52:53], vcc
; %bb.251:                              ;   in Loop: Header=BB8_124 Depth=2
	v_or_b32_e32 v2, 0x10000, v4
	v_cmp_eq_u32_sdwa vcc, v4, v55 src0_sel:WORD_0 src1_sel:DWORD
	s_nop 1
	v_cndmask_b32_e32 v27, v2, v4, vcc
; %bb.252:                              ;   in Loop: Header=BB8_124 Depth=2
	s_or_b64 exec, exec, s[52:53]
	v_and_b32_e32 v2, 0xffff0000, v29
	v_and_b32_e32 v4, 0xffff0000, v3
	v_pk_mul_f32 v[2:3], v[2:3], v[4:5] op_sel_hi:[0,1]
	v_and_b32_e32 v3, 0x7f800000, v2
	v_cmp_ne_u32_e32 vcc, s70, v3
                                        ; implicit-def: $vgpr4
	s_and_saveexec_b64 s[52:53], vcc
	s_xor_b64 vcc, exec, s[52:53]
; %bb.253:                              ;   in Loop: Header=BB8_124 Depth=2
	v_bfe_u32 v3, v2, 16, 1
	v_add3_u32 v4, v2, v3, s71
                                        ; implicit-def: $vgpr2_vgpr3
; %bb.254:                              ;   in Loop: Header=BB8_124 Depth=2
	s_andn2_saveexec_b64 s[52:53], vcc
	s_cbranch_execz .LBB8_123
; %bb.255:                              ;   in Loop: Header=BB8_124 Depth=2
	v_or_b32_e32 v3, 0x10000, v2
	v_cmp_eq_u32_sdwa vcc, v2, v55 src0_sel:WORD_0 src1_sel:DWORD
	s_nop 1
	v_cndmask_b32_e32 v4, v3, v2, vcc
	s_branch .LBB8_123
.LBB8_256:                              ;   in Loop: Header=BB8_49 Depth=1
	s_or_b64 exec, exec, s[20:21]
	s_and_b64 s[20:21], s[22:23], exec
	v_accvgpr_read_b32 v29, a0
	v_accvgpr_read_b32 v31, a1
	;; [unrolled: 1-line block ×3, first 2 shown]
.LBB8_257:                              ;   in Loop: Header=BB8_49 Depth=1
	s_or_b64 exec, exec, s[18:19]
	s_and_saveexec_b64 s[18:19], s[20:21]
	s_cbranch_execz .LBB8_323
; %bb.258:                              ;   in Loop: Header=BB8_49 Depth=1
	v_lshlrev_b32_e32 v2, 16, v22
	v_lshlrev_b32_e32 v4, 16, v18
	v_pk_mul_f32 v[2:3], v[2:3], v[4:5] op_sel_hi:[0,1]
	v_and_b32_e32 v3, 0x7f800000, v2
	v_cmp_ne_u32_e32 vcc, s70, v3
                                        ; implicit-def: $vgpr4
	s_and_saveexec_b64 s[20:21], vcc
	s_xor_b64 s[20:21], exec, s[20:21]
; %bb.259:                              ;   in Loop: Header=BB8_49 Depth=1
	v_bfe_u32 v3, v2, 16, 1
	v_add3_u32 v4, v2, v3, s71
                                        ; implicit-def: $vgpr2_vgpr3
; %bb.260:                              ;   in Loop: Header=BB8_49 Depth=1
	s_andn2_saveexec_b64 s[20:21], s[20:21]
; %bb.261:                              ;   in Loop: Header=BB8_49 Depth=1
	v_or_b32_e32 v3, 0x10000, v2
	v_cmp_eq_u32_sdwa vcc, v2, v55 src0_sel:WORD_0 src1_sel:DWORD
	s_nop 1
	v_cndmask_b32_e32 v4, v3, v2, vcc
; %bb.262:                              ;   in Loop: Header=BB8_49 Depth=1
	s_or_b64 exec, exec, s[20:21]
	v_mov_b32_e32 v2, v18
	v_mov_b32_e32 v3, v22
	v_and_b32_e32 v6, 0xffff0000, v3
	v_and_b32_e32 v2, 0xffff0000, v2
	v_pk_mul_f32 v[2:3], v[6:7], v[2:3] op_sel_hi:[0,1]
	v_and_b32_e32 v3, 0x7f800000, v2
	v_cmp_ne_u32_e32 vcc, s70, v3
                                        ; implicit-def: $vgpr5
	s_and_saveexec_b64 s[20:21], vcc
	s_xor_b64 s[20:21], exec, s[20:21]
; %bb.263:                              ;   in Loop: Header=BB8_49 Depth=1
	v_bfe_u32 v3, v2, 16, 1
	v_add3_u32 v5, v2, v3, s71
                                        ; implicit-def: $vgpr2_vgpr3
; %bb.264:                              ;   in Loop: Header=BB8_49 Depth=1
	s_andn2_saveexec_b64 s[20:21], s[20:21]
; %bb.265:                              ;   in Loop: Header=BB8_49 Depth=1
	v_or_b32_e32 v3, 0x10000, v2
	v_cmp_eq_u32_sdwa vcc, v2, v55 src0_sel:WORD_0 src1_sel:DWORD
	s_nop 1
	v_cndmask_b32_e32 v5, v3, v2, vcc
; %bb.266:                              ;   in Loop: Header=BB8_49 Depth=1
	s_or_b64 exec, exec, s[20:21]
	v_lshlrev_b32_e32 v2, 16, v23
	v_lshlrev_b32_e32 v6, 16, v19
	v_pk_mul_f32 v[2:3], v[2:3], v[6:7] op_sel_hi:[0,1]
	v_and_b32_e32 v3, 0x7f800000, v2
	v_cmp_ne_u32_e32 vcc, s70, v3
                                        ; implicit-def: $vgpr18
	s_and_saveexec_b64 s[20:21], vcc
	s_xor_b64 s[20:21], exec, s[20:21]
; %bb.267:                              ;   in Loop: Header=BB8_49 Depth=1
	v_bfe_u32 v3, v2, 16, 1
	v_add3_u32 v18, v2, v3, s71
                                        ; implicit-def: $vgpr2_vgpr3
; %bb.268:                              ;   in Loop: Header=BB8_49 Depth=1
	s_andn2_saveexec_b64 s[20:21], s[20:21]
; %bb.269:                              ;   in Loop: Header=BB8_49 Depth=1
	v_or_b32_e32 v3, 0x10000, v2
	v_cmp_eq_u32_sdwa vcc, v2, v55 src0_sel:WORD_0 src1_sel:DWORD
	s_nop 1
	v_cndmask_b32_e32 v18, v3, v2, vcc
; %bb.270:                              ;   in Loop: Header=BB8_49 Depth=1
	s_or_b64 exec, exec, s[20:21]
	v_mov_b32_e32 v2, v19
	v_and_b32_e32 v6, 0xffff0000, v23
	v_and_b32_e32 v2, 0xffff0000, v2
	v_pk_mul_f32 v[2:3], v[6:7], v[2:3] op_sel_hi:[0,1]
	v_and_b32_e32 v3, 0x7f800000, v2
	v_cmp_ne_u32_e32 vcc, s70, v3
                                        ; implicit-def: $vgpr19
	s_and_saveexec_b64 s[20:21], vcc
	s_xor_b64 s[20:21], exec, s[20:21]
; %bb.271:                              ;   in Loop: Header=BB8_49 Depth=1
	v_bfe_u32 v3, v2, 16, 1
	v_add3_u32 v19, v2, v3, s71
                                        ; implicit-def: $vgpr2_vgpr3
; %bb.272:                              ;   in Loop: Header=BB8_49 Depth=1
	s_andn2_saveexec_b64 s[20:21], s[20:21]
; %bb.273:                              ;   in Loop: Header=BB8_49 Depth=1
	v_or_b32_e32 v3, 0x10000, v2
	v_cmp_eq_u32_sdwa vcc, v2, v55 src0_sel:WORD_0 src1_sel:DWORD
	s_nop 1
	v_cndmask_b32_e32 v19, v3, v2, vcc
; %bb.274:                              ;   in Loop: Header=BB8_49 Depth=1
	s_or_b64 exec, exec, s[20:21]
	v_lshlrev_b32_e32 v2, 16, v24
	v_lshlrev_b32_e32 v6, 16, v20
	v_pk_mul_f32 v[2:3], v[2:3], v[6:7] op_sel_hi:[0,1]
	v_and_b32_e32 v3, 0x7f800000, v2
	v_cmp_ne_u32_e32 vcc, s70, v3
                                        ; implicit-def: $vgpr22
	s_and_saveexec_b64 s[20:21], vcc
	s_xor_b64 s[20:21], exec, s[20:21]
; %bb.275:                              ;   in Loop: Header=BB8_49 Depth=1
	v_bfe_u32 v3, v2, 16, 1
	v_add3_u32 v22, v2, v3, s71
                                        ; implicit-def: $vgpr2_vgpr3
; %bb.276:                              ;   in Loop: Header=BB8_49 Depth=1
	s_andn2_saveexec_b64 s[20:21], s[20:21]
; %bb.277:                              ;   in Loop: Header=BB8_49 Depth=1
	v_or_b32_e32 v3, 0x10000, v2
	v_cmp_eq_u32_sdwa vcc, v2, v55 src0_sel:WORD_0 src1_sel:DWORD
	s_nop 1
	v_cndmask_b32_e32 v22, v3, v2, vcc
; %bb.278:                              ;   in Loop: Header=BB8_49 Depth=1
	s_or_b64 exec, exec, s[20:21]
	v_mov_b32_e32 v2, v20
	v_mov_b32_e32 v3, v24
	v_and_b32_e32 v6, 0xffff0000, v3
	v_and_b32_e32 v2, 0xffff0000, v2
	v_pk_mul_f32 v[2:3], v[6:7], v[2:3] op_sel_hi:[0,1]
	v_and_b32_e32 v3, 0x7f800000, v2
	v_cmp_ne_u32_e32 vcc, s70, v3
                                        ; implicit-def: $vgpr20
	s_and_saveexec_b64 s[20:21], vcc
	s_xor_b64 s[20:21], exec, s[20:21]
; %bb.279:                              ;   in Loop: Header=BB8_49 Depth=1
	v_bfe_u32 v3, v2, 16, 1
	v_add3_u32 v20, v2, v3, s71
                                        ; implicit-def: $vgpr2_vgpr3
; %bb.280:                              ;   in Loop: Header=BB8_49 Depth=1
	s_andn2_saveexec_b64 s[20:21], s[20:21]
; %bb.281:                              ;   in Loop: Header=BB8_49 Depth=1
	v_or_b32_e32 v3, 0x10000, v2
	v_cmp_eq_u32_sdwa vcc, v2, v55 src0_sel:WORD_0 src1_sel:DWORD
	s_nop 1
	v_cndmask_b32_e32 v20, v3, v2, vcc
; %bb.282:                              ;   in Loop: Header=BB8_49 Depth=1
	s_or_b64 exec, exec, s[20:21]
	v_lshlrev_b32_e32 v2, 16, v25
	v_lshlrev_b32_e32 v6, 16, v21
	v_pk_mul_f32 v[2:3], v[2:3], v[6:7] op_sel_hi:[0,1]
	v_and_b32_e32 v3, 0x7f800000, v2
	v_cmp_ne_u32_e32 vcc, s70, v3
                                        ; implicit-def: $vgpr23
	s_and_saveexec_b64 s[20:21], vcc
	s_xor_b64 s[20:21], exec, s[20:21]
; %bb.283:                              ;   in Loop: Header=BB8_49 Depth=1
	v_bfe_u32 v3, v2, 16, 1
	v_add3_u32 v23, v2, v3, s71
                                        ; implicit-def: $vgpr2_vgpr3
; %bb.284:                              ;   in Loop: Header=BB8_49 Depth=1
	s_andn2_saveexec_b64 s[20:21], s[20:21]
; %bb.285:                              ;   in Loop: Header=BB8_49 Depth=1
	v_or_b32_e32 v3, 0x10000, v2
	v_cmp_eq_u32_sdwa vcc, v2, v55 src0_sel:WORD_0 src1_sel:DWORD
	s_nop 1
	v_cndmask_b32_e32 v23, v3, v2, vcc
; %bb.286:                              ;   in Loop: Header=BB8_49 Depth=1
	s_or_b64 exec, exec, s[20:21]
	v_mov_b32_e32 v2, v21
	v_and_b32_e32 v6, 0xffff0000, v25
	v_and_b32_e32 v2, 0xffff0000, v2
	v_pk_mul_f32 v[2:3], v[6:7], v[2:3] op_sel_hi:[0,1]
	v_and_b32_e32 v3, 0x7f800000, v2
	v_cmp_ne_u32_e32 vcc, s70, v3
                                        ; implicit-def: $vgpr21
	s_and_saveexec_b64 s[20:21], vcc
	s_xor_b64 s[20:21], exec, s[20:21]
; %bb.287:                              ;   in Loop: Header=BB8_49 Depth=1
	v_bfe_u32 v3, v2, 16, 1
	v_add3_u32 v21, v2, v3, s71
                                        ; implicit-def: $vgpr2_vgpr3
; %bb.288:                              ;   in Loop: Header=BB8_49 Depth=1
	s_andn2_saveexec_b64 s[20:21], s[20:21]
; %bb.289:                              ;   in Loop: Header=BB8_49 Depth=1
	v_or_b32_e32 v3, 0x10000, v2
	v_cmp_eq_u32_sdwa vcc, v2, v55 src0_sel:WORD_0 src1_sel:DWORD
	s_nop 1
	v_cndmask_b32_e32 v21, v3, v2, vcc
; %bb.290:                              ;   in Loop: Header=BB8_49 Depth=1
	s_or_b64 exec, exec, s[20:21]
	v_lshlrev_b32_e32 v2, 16, v14
	v_lshlrev_b32_e32 v6, 16, v10
	v_pk_mul_f32 v[2:3], v[2:3], v[6:7] op_sel_hi:[0,1]
	v_and_b32_e32 v3, 0x7f800000, v2
	v_cmp_ne_u32_e32 vcc, s70, v3
                                        ; implicit-def: $vgpr24
	s_and_saveexec_b64 s[20:21], vcc
	s_xor_b64 s[20:21], exec, s[20:21]
; %bb.291:                              ;   in Loop: Header=BB8_49 Depth=1
	v_bfe_u32 v3, v2, 16, 1
	v_add3_u32 v24, v2, v3, s71
                                        ; implicit-def: $vgpr2_vgpr3
; %bb.292:                              ;   in Loop: Header=BB8_49 Depth=1
	s_andn2_saveexec_b64 s[20:21], s[20:21]
; %bb.293:                              ;   in Loop: Header=BB8_49 Depth=1
	v_or_b32_e32 v3, 0x10000, v2
	v_cmp_eq_u32_sdwa vcc, v2, v55 src0_sel:WORD_0 src1_sel:DWORD
	s_nop 1
	v_cndmask_b32_e32 v24, v3, v2, vcc
; %bb.294:                              ;   in Loop: Header=BB8_49 Depth=1
	s_or_b64 exec, exec, s[20:21]
	v_mov_b32_e32 v2, v10
	v_mov_b32_e32 v3, v14
	v_and_b32_e32 v6, 0xffff0000, v3
	v_and_b32_e32 v2, 0xffff0000, v2
	v_pk_mul_f32 v[2:3], v[6:7], v[2:3] op_sel_hi:[0,1]
	v_and_b32_e32 v3, 0x7f800000, v2
	v_cmp_ne_u32_e32 vcc, s70, v3
                                        ; implicit-def: $vgpr10
	s_and_saveexec_b64 s[20:21], vcc
	s_xor_b64 s[20:21], exec, s[20:21]
; %bb.295:                              ;   in Loop: Header=BB8_49 Depth=1
	v_bfe_u32 v3, v2, 16, 1
	v_add3_u32 v10, v2, v3, s71
                                        ; implicit-def: $vgpr2_vgpr3
; %bb.296:                              ;   in Loop: Header=BB8_49 Depth=1
	s_andn2_saveexec_b64 s[20:21], s[20:21]
; %bb.297:                              ;   in Loop: Header=BB8_49 Depth=1
	v_or_b32_e32 v3, 0x10000, v2
	v_cmp_eq_u32_sdwa vcc, v2, v55 src0_sel:WORD_0 src1_sel:DWORD
	s_nop 1
	v_cndmask_b32_e32 v10, v3, v2, vcc
; %bb.298:                              ;   in Loop: Header=BB8_49 Depth=1
	s_or_b64 exec, exec, s[20:21]
	v_lshlrev_b32_e32 v2, 16, v15
	v_lshlrev_b32_e32 v6, 16, v11
	v_pk_mul_f32 v[2:3], v[2:3], v[6:7] op_sel_hi:[0,1]
	v_and_b32_e32 v3, 0x7f800000, v2
	v_cmp_ne_u32_e32 vcc, s70, v3
                                        ; implicit-def: $vgpr6
	s_and_saveexec_b64 s[20:21], vcc
	s_xor_b64 s[20:21], exec, s[20:21]
; %bb.299:                              ;   in Loop: Header=BB8_49 Depth=1
	v_bfe_u32 v3, v2, 16, 1
	v_add3_u32 v6, v2, v3, s71
                                        ; implicit-def: $vgpr2_vgpr3
; %bb.300:                              ;   in Loop: Header=BB8_49 Depth=1
	s_andn2_saveexec_b64 s[20:21], s[20:21]
; %bb.301:                              ;   in Loop: Header=BB8_49 Depth=1
	v_or_b32_e32 v3, 0x10000, v2
	v_cmp_eq_u32_sdwa vcc, v2, v55 src0_sel:WORD_0 src1_sel:DWORD
	s_nop 1
	v_cndmask_b32_e32 v6, v3, v2, vcc
; %bb.302:                              ;   in Loop: Header=BB8_49 Depth=1
	s_or_b64 exec, exec, s[20:21]
	v_mov_b32_e32 v2, v11
	v_and_b32_e32 v8, 0xffff0000, v15
	v_and_b32_e32 v2, 0xffff0000, v2
	v_pk_mul_f32 v[2:3], v[8:9], v[2:3] op_sel_hi:[0,1]
	v_and_b32_e32 v3, 0x7f800000, v2
	v_cmp_ne_u32_e32 vcc, s70, v3
                                        ; implicit-def: $vgpr7
	s_and_saveexec_b64 s[20:21], vcc
	s_xor_b64 s[20:21], exec, s[20:21]
; %bb.303:                              ;   in Loop: Header=BB8_49 Depth=1
	v_bfe_u32 v3, v2, 16, 1
	v_add3_u32 v7, v2, v3, s71
                                        ; implicit-def: $vgpr2_vgpr3
; %bb.304:                              ;   in Loop: Header=BB8_49 Depth=1
	s_andn2_saveexec_b64 s[20:21], s[20:21]
; %bb.305:                              ;   in Loop: Header=BB8_49 Depth=1
	v_or_b32_e32 v3, 0x10000, v2
	v_cmp_eq_u32_sdwa vcc, v2, v55 src0_sel:WORD_0 src1_sel:DWORD
	s_nop 1
	v_cndmask_b32_e32 v7, v3, v2, vcc
; %bb.306:                              ;   in Loop: Header=BB8_49 Depth=1
	s_or_b64 exec, exec, s[20:21]
	v_lshlrev_b32_e32 v2, 16, v16
	v_lshlrev_b32_e32 v8, 16, v12
	v_pk_mul_f32 v[2:3], v[2:3], v[8:9] op_sel_hi:[0,1]
	v_and_b32_e32 v3, 0x7f800000, v2
	v_cmp_ne_u32_e32 vcc, s70, v3
                                        ; implicit-def: $vgpr8
	s_and_saveexec_b64 s[20:21], vcc
	s_xor_b64 s[20:21], exec, s[20:21]
; %bb.307:                              ;   in Loop: Header=BB8_49 Depth=1
	v_bfe_u32 v3, v2, 16, 1
	v_add3_u32 v8, v2, v3, s71
                                        ; implicit-def: $vgpr2_vgpr3
; %bb.308:                              ;   in Loop: Header=BB8_49 Depth=1
	s_andn2_saveexec_b64 s[20:21], s[20:21]
; %bb.309:                              ;   in Loop: Header=BB8_49 Depth=1
	v_or_b32_e32 v3, 0x10000, v2
	v_cmp_eq_u32_sdwa vcc, v2, v55 src0_sel:WORD_0 src1_sel:DWORD
	s_nop 1
	v_cndmask_b32_e32 v8, v3, v2, vcc
; %bb.310:                              ;   in Loop: Header=BB8_49 Depth=1
	s_or_b64 exec, exec, s[20:21]
	v_mov_b32_e32 v2, v12
	v_mov_b32_e32 v3, v16
	v_and_b32_e32 v12, 0xffff0000, v3
	v_and_b32_e32 v2, 0xffff0000, v2
	v_pk_mul_f32 v[2:3], v[12:13], v[2:3] op_sel_hi:[0,1]
	v_and_b32_e32 v3, 0x7f800000, v2
	v_cmp_ne_u32_e32 vcc, s70, v3
                                        ; implicit-def: $vgpr9
	s_and_saveexec_b64 s[20:21], vcc
	s_xor_b64 s[20:21], exec, s[20:21]
; %bb.311:                              ;   in Loop: Header=BB8_49 Depth=1
	v_bfe_u32 v3, v2, 16, 1
	v_add3_u32 v9, v2, v3, s71
                                        ; implicit-def: $vgpr2_vgpr3
; %bb.312:                              ;   in Loop: Header=BB8_49 Depth=1
	s_andn2_saveexec_b64 s[20:21], s[20:21]
; %bb.313:                              ;   in Loop: Header=BB8_49 Depth=1
	v_or_b32_e32 v3, 0x10000, v2
	v_cmp_eq_u32_sdwa vcc, v2, v55 src0_sel:WORD_0 src1_sel:DWORD
	s_nop 1
	v_cndmask_b32_e32 v9, v3, v2, vcc
; %bb.314:                              ;   in Loop: Header=BB8_49 Depth=1
	s_or_b64 exec, exec, s[20:21]
	v_lshlrev_b32_e32 v2, 16, v17
	v_lshlrev_b32_e32 v12, 16, v13
	v_pk_mul_f32 v[2:3], v[2:3], v[12:13] op_sel_hi:[0,1]
	v_and_b32_e32 v3, 0x7f800000, v2
	v_cmp_ne_u32_e32 vcc, s70, v3
                                        ; implicit-def: $vgpr11
	s_and_saveexec_b64 s[20:21], vcc
	s_xor_b64 s[20:21], exec, s[20:21]
; %bb.315:                              ;   in Loop: Header=BB8_49 Depth=1
	v_bfe_u32 v3, v2, 16, 1
	v_add3_u32 v11, v2, v3, s71
                                        ; implicit-def: $vgpr2_vgpr3
; %bb.316:                              ;   in Loop: Header=BB8_49 Depth=1
	s_andn2_saveexec_b64 s[20:21], s[20:21]
; %bb.317:                              ;   in Loop: Header=BB8_49 Depth=1
	v_or_b32_e32 v3, 0x10000, v2
	v_cmp_eq_u32_sdwa vcc, v2, v55 src0_sel:WORD_0 src1_sel:DWORD
	s_nop 1
	v_cndmask_b32_e32 v11, v3, v2, vcc
; %bb.318:                              ;   in Loop: Header=BB8_49 Depth=1
	s_or_b64 exec, exec, s[20:21]
	v_mov_b32_e32 v2, v13
	v_and_b32_e32 v12, 0xffff0000, v17
	v_and_b32_e32 v2, 0xffff0000, v2
	v_pk_mul_f32 v[2:3], v[12:13], v[2:3] op_sel_hi:[0,1]
	v_and_b32_e32 v3, 0x7f800000, v2
	v_cmp_ne_u32_e32 vcc, s70, v3
                                        ; implicit-def: $vgpr12
	s_and_saveexec_b64 s[20:21], vcc
	s_xor_b64 s[20:21], exec, s[20:21]
; %bb.319:                              ;   in Loop: Header=BB8_49 Depth=1
	v_bfe_u32 v3, v2, 16, 1
	v_add3_u32 v12, v2, v3, s71
                                        ; implicit-def: $vgpr2_vgpr3
; %bb.320:                              ;   in Loop: Header=BB8_49 Depth=1
	s_andn2_saveexec_b64 s[20:21], s[20:21]
; %bb.321:                              ;   in Loop: Header=BB8_49 Depth=1
	v_or_b32_e32 v3, 0x10000, v2
	v_cmp_eq_u32_sdwa vcc, v2, v55 src0_sel:WORD_0 src1_sel:DWORD
	s_nop 1
	v_cndmask_b32_e32 v12, v3, v2, vcc
; %bb.322:                              ;   in Loop: Header=BB8_49 Depth=1
	s_or_b64 exec, exec, s[20:21]
	v_lshrrev_b32_e32 v2, 16, v18
	v_and_or_b32 v3, v19, s72, v2
	v_lshrrev_b32_e32 v2, 16, v4
	v_and_or_b32 v2, v5, s72, v2
	v_lshrrev_b32_e32 v4, 16, v22
	v_lshrrev_b32_e32 v5, 16, v23
	;; [unrolled: 1-line block ×4, first 2 shown]
	v_and_or_b32 v4, v20, s72, v4
	v_and_or_b32 v5, v21, s72, v5
	;; [unrolled: 1-line block ×3, first 2 shown]
	v_lshrrev_b32_e32 v6, 16, v24
	v_and_or_b32 v8, v9, s72, v8
	v_lshrrev_b32_e32 v9, 16, v11
	v_and_or_b32 v6, v10, s72, v6
	v_and_or_b32 v9, v12, s72, v9
	global_store_dwordx4 v[0:1], v[2:5], off nt
	global_store_dwordx4 v[0:1], v[6:9], off offset:1024 nt
.LBB8_323:                              ;   in Loop: Header=BB8_49 Depth=1
	s_or_b64 exec, exec, s[18:19]
	v_accvgpr_read_b32 v0, a47
	v_lshlrev_b32_e32 v22, 11, v0
	v_accvgpr_read_b32 v0, a46
	s_mov_b64 s[18:19], 0
	v_mov_b32_e32 v12, 0
	v_cmp_ne_u32_e32 vcc, v0, v22
                                        ; implicit-def: $vgpr13
                                        ; implicit-def: $vgpr0
	s_mov_b64 s[50:51], exec
	v_accvgpr_read_b32 v6, a48
	s_and_b64 s[20:21], s[50:51], vcc
	v_accvgpr_read_b32 v7, a49
	s_mov_b64 exec, s[20:21]
	s_cbranch_execz .LBB8_438
; %bb.324:                              ;   in Loop: Header=BB8_49 Depth=1
	v_lshlrev_b32_e32 v1, 6, v54
	v_accvgpr_read_b32 v2, a3
	v_sub_u32_e32 v1, v2, v1
	v_ashrrev_i32_e32 v2, 31, v1
	v_lshrrev_b32_e32 v2, 26, v2
	v_add_u32_e32 v2, v1, v2
	v_ashrrev_i32_e32 v4, 6, v2
	v_and_b32_e32 v2, 0xffffffc0, v2
	v_sub_u32_e32 v23, v1, v2
	v_accvgpr_read_b32 v0, a46
	v_lshlrev_b32_e32 v1, 4, v23
	v_sub_u32_e32 v0, v0, v22
	v_lshl_add_u32 v1, v4, 10, v1
	v_add_u32_e32 v2, v1, v22
	v_sub_u32_e32 v27, v0, v1
	v_ashrrev_i32_e32 v1, 31, v0
	v_lshrrev_b32_e32 v1, 22, v1
	v_add_u32_e32 v1, v0, v1
	v_and_b32_e32 v24, 0xfffffc00, v1
	v_sub_u32_e32 v25, v0, v24
	v_ashrrev_i32_e32 v3, 10, v1
	v_cmp_lt_i32_e64 s[18:19], 15, v25
	s_mov_b64 s[22:23], 0
	s_nop 0
	v_addc_co_u32_e64 v0, vcc, 0, v3, s[18:19]
	v_ashrrev_i32_e32 v3, 31, v2
	v_sub_u32_e32 v26, v0, v4
	v_lshl_add_u64 v[0:1], v[2:3], 0, v[6:7]
	v_cmp_lt_i32_e32 vcc, 15, v27
	s_and_saveexec_b64 s[52:53], vcc
	s_cbranch_execz .LBB8_401
; %bb.325:                              ;   in Loop: Header=BB8_49 Depth=1
	s_trap 2
	ds_read_b128 v[4:7], v0
	s_mov_b64 s[58:59], 0
	s_mov_b64 s[54:55], 0
                                        ; implicit-def: $sgpr56_sgpr57
	s_waitcnt lgkmcnt(0)
	v_lshl_add_u64 v[18:19], v[4:5], 0, v[2:3]
	v_lshl_add_u64 v[20:21], v[6:7], 0, v[2:3]
	s_branch .LBB8_327
.LBB8_326:                              ;   in Loop: Header=BB8_327 Depth=2
	s_or_b64 exec, exec, s[20:21]
	v_cmp_gt_i32_e32 vcc, 16, v27
	s_or_b64 s[54:55], vcc, s[54:55]
	s_andn2_b64 s[20:21], s[56:57], exec
	s_and_b64 s[22:23], s[58:59], exec
	s_or_b64 s[56:57], s[20:21], s[22:23]
	s_andn2_b64 exec, exec, s[54:55]
	s_cbranch_execz .LBB8_400
.LBB8_327:                              ;   Parent Loop BB8_49 Depth=1
                                        ; =>  This Loop Header: Depth=2
                                        ;       Child Loop BB8_328 Depth 3
                                        ;       Child Loop BB8_365 Depth 3
	s_add_i32 s20, s33, 0x90
	v_mov_b32_e32 v2, s20
	s_mov_b64 s[60:61], -1
	s_mov_b64 s[62:63], 0
.LBB8_328:                              ;   Parent Loop BB8_49 Depth=1
                                        ;     Parent Loop BB8_327 Depth=2
                                        ; =>    This Inner Loop Header: Depth=3
	s_cmp_eq_u32 s62, 1
	s_cselect_b64 vcc, -1, 0
	v_cndmask_b32_e32 v9, v19, v21, vcc
	v_cndmask_b32_e32 v8, v18, v20, vcc
	global_load_dwordx4 v[4:7], v[8:9], off nt
	s_cmp_eq_u32 s62, 0
	v_lshl_add_u64 v[8:9], v[8:9], 0, s[38:39]
	s_cselect_b64 s[20:21], -1, 0
	s_and_b64 s[22:23], exec, s[60:61]
	s_mov_b64 s[62:63], 1
	s_mov_b64 s[60:61], 0
	v_cndmask_b32_e64 v19, v19, v9, s[20:21]
	v_cndmask_b32_e64 v18, v18, v8, s[20:21]
	v_cndmask_b32_e32 v21, v21, v9, vcc
	v_cndmask_b32_e32 v20, v20, v8, vcc
	s_mov_b64 vcc, s[22:23]
	s_waitcnt vmcnt(0)
	scratch_store_dwordx4 v2, v[4:7], off
	v_mov_b32_e32 v2, v58
	s_cbranch_vccnz .LBB8_328
; %bb.329:                              ;   in Loop: Header=BB8_327 Depth=2
	s_and_saveexec_b64 s[20:21], s[58:59]
	s_cbranch_execz .LBB8_363
; %bb.330:                              ;   in Loop: Header=BB8_327 Depth=2
	scratch_load_dwordx4 v[10:13], off, s33 offset:192
	scratch_load_dwordx4 v[14:17], off, s33 offset:176
                                        ; implicit-def: $vgpr28
	s_waitcnt vmcnt(1)
	v_lshlrev_b32_e32 v2, 16, v10
	s_waitcnt vmcnt(0)
	v_lshlrev_b32_e32 v4, 16, v14
	v_pk_mul_f32 v[2:3], v[2:3], v[4:5] op_sel_hi:[0,1]
	v_and_b32_e32 v3, 0x7f800000, v2
	v_cmp_ne_u32_e32 vcc, s70, v3
	s_and_saveexec_b64 s[22:23], vcc
	s_xor_b64 s[22:23], exec, s[22:23]
; %bb.331:                              ;   in Loop: Header=BB8_327 Depth=2
	v_bfe_u32 v3, v2, 16, 1
	v_add3_u32 v28, v2, v3, s71
                                        ; implicit-def: $vgpr2_vgpr3
; %bb.332:                              ;   in Loop: Header=BB8_327 Depth=2
	s_andn2_saveexec_b64 s[22:23], s[22:23]
; %bb.333:                              ;   in Loop: Header=BB8_327 Depth=2
	v_or_b32_e32 v3, 0x10000, v2
	v_cmp_eq_u32_sdwa vcc, v2, v55 src0_sel:WORD_0 src1_sel:DWORD
	s_nop 1
	v_cndmask_b32_e32 v28, v3, v2, vcc
; %bb.334:                              ;   in Loop: Header=BB8_327 Depth=2
	s_or_b64 exec, exec, s[22:23]
	v_and_b32_e32 v2, 0xffff0000, v10
	v_and_b32_e32 v4, 0xffff0000, v14
	v_pk_mul_f32 v[2:3], v[2:3], v[4:5] op_sel_hi:[0,1]
	v_and_b32_e32 v3, 0x7f800000, v2
	v_cmp_ne_u32_e32 vcc, s70, v3
                                        ; implicit-def: $vgpr10
	s_and_saveexec_b64 s[22:23], vcc
	s_xor_b64 s[22:23], exec, s[22:23]
; %bb.335:                              ;   in Loop: Header=BB8_327 Depth=2
	v_bfe_u32 v3, v2, 16, 1
	v_add3_u32 v10, v2, v3, s71
                                        ; implicit-def: $vgpr2_vgpr3
; %bb.336:                              ;   in Loop: Header=BB8_327 Depth=2
	s_andn2_saveexec_b64 s[22:23], s[22:23]
; %bb.337:                              ;   in Loop: Header=BB8_327 Depth=2
	v_or_b32_e32 v3, 0x10000, v2
	v_cmp_eq_u32_sdwa vcc, v2, v55 src0_sel:WORD_0 src1_sel:DWORD
	s_nop 1
	v_cndmask_b32_e32 v10, v3, v2, vcc
; %bb.338:                              ;   in Loop: Header=BB8_327 Depth=2
	s_or_b64 exec, exec, s[22:23]
	v_mov_b32_e32 v3, v11
	v_lshlrev_b32_e32 v2, 16, v3
	v_lshlrev_b32_e32 v4, 16, v15
	v_pk_mul_f32 v[4:5], v[2:3], v[4:5] op_sel_hi:[0,1]
	v_and_b32_e32 v2, 0x7f800000, v4
	v_cmp_ne_u32_e32 vcc, s70, v2
                                        ; implicit-def: $vgpr6
	s_and_saveexec_b64 s[22:23], vcc
	s_xor_b64 s[22:23], exec, s[22:23]
; %bb.339:                              ;   in Loop: Header=BB8_327 Depth=2
	v_bfe_u32 v2, v4, 16, 1
	v_add3_u32 v6, v4, v2, s71
                                        ; implicit-def: $vgpr4_vgpr5
; %bb.340:                              ;   in Loop: Header=BB8_327 Depth=2
	s_andn2_saveexec_b64 s[22:23], s[22:23]
; %bb.341:                              ;   in Loop: Header=BB8_327 Depth=2
	v_or_b32_e32 v2, 0x10000, v4
	v_cmp_eq_u32_sdwa vcc, v4, v55 src0_sel:WORD_0 src1_sel:DWORD
	s_nop 1
	v_cndmask_b32_e32 v6, v2, v4, vcc
; %bb.342:                              ;   in Loop: Header=BB8_327 Depth=2
	s_or_b64 exec, exec, s[22:23]
	v_and_b32_e32 v2, 0xffff0000, v3
	v_and_b32_e32 v4, 0xffff0000, v15
	v_pk_mul_f32 v[2:3], v[2:3], v[4:5] op_sel_hi:[0,1]
	v_and_b32_e32 v3, 0x7f800000, v2
	v_cmp_ne_u32_e32 vcc, s70, v3
                                        ; implicit-def: $vgpr7
	s_and_saveexec_b64 s[22:23], vcc
	s_xor_b64 s[22:23], exec, s[22:23]
; %bb.343:                              ;   in Loop: Header=BB8_327 Depth=2
	v_bfe_u32 v3, v2, 16, 1
	v_add3_u32 v7, v2, v3, s71
                                        ; implicit-def: $vgpr2_vgpr3
; %bb.344:                              ;   in Loop: Header=BB8_327 Depth=2
	s_andn2_saveexec_b64 s[22:23], s[22:23]
; %bb.345:                              ;   in Loop: Header=BB8_327 Depth=2
	v_or_b32_e32 v3, 0x10000, v2
	v_cmp_eq_u32_sdwa vcc, v2, v55 src0_sel:WORD_0 src1_sel:DWORD
	s_nop 1
	v_cndmask_b32_e32 v7, v3, v2, vcc
; %bb.346:                              ;   in Loop: Header=BB8_327 Depth=2
	s_or_b64 exec, exec, s[22:23]
	v_lshlrev_b32_e32 v2, 16, v12
	v_lshlrev_b32_e32 v4, 16, v16
	v_pk_mul_f32 v[2:3], v[2:3], v[4:5] op_sel_hi:[0,1]
	v_and_b32_e32 v3, 0x7f800000, v2
	v_cmp_ne_u32_e32 vcc, s70, v3
                                        ; implicit-def: $vgpr8
	s_and_saveexec_b64 s[22:23], vcc
	s_xor_b64 s[22:23], exec, s[22:23]
; %bb.347:                              ;   in Loop: Header=BB8_327 Depth=2
	v_bfe_u32 v3, v2, 16, 1
	v_add3_u32 v8, v2, v3, s71
                                        ; implicit-def: $vgpr2_vgpr3
; %bb.348:                              ;   in Loop: Header=BB8_327 Depth=2
	s_andn2_saveexec_b64 s[22:23], s[22:23]
; %bb.349:                              ;   in Loop: Header=BB8_327 Depth=2
	v_or_b32_e32 v3, 0x10000, v2
	v_cmp_eq_u32_sdwa vcc, v2, v55 src0_sel:WORD_0 src1_sel:DWORD
	s_nop 1
	v_cndmask_b32_e32 v8, v3, v2, vcc
; %bb.350:                              ;   in Loop: Header=BB8_327 Depth=2
	s_or_b64 exec, exec, s[22:23]
	v_and_b32_e32 v2, 0xffff0000, v12
	v_and_b32_e32 v4, 0xffff0000, v16
	v_pk_mul_f32 v[2:3], v[2:3], v[4:5] op_sel_hi:[0,1]
	v_and_b32_e32 v3, 0x7f800000, v2
	v_cmp_ne_u32_e32 vcc, s70, v3
                                        ; implicit-def: $vgpr9
	s_and_saveexec_b64 s[22:23], vcc
	s_xor_b64 s[22:23], exec, s[22:23]
; %bb.351:                              ;   in Loop: Header=BB8_327 Depth=2
	v_bfe_u32 v3, v2, 16, 1
	v_add3_u32 v9, v2, v3, s71
                                        ; implicit-def: $vgpr2_vgpr3
; %bb.352:                              ;   in Loop: Header=BB8_327 Depth=2
	s_andn2_saveexec_b64 s[22:23], s[22:23]
; %bb.353:                              ;   in Loop: Header=BB8_327 Depth=2
	v_or_b32_e32 v3, 0x10000, v2
	v_cmp_eq_u32_sdwa vcc, v2, v55 src0_sel:WORD_0 src1_sel:DWORD
	s_nop 1
	v_cndmask_b32_e32 v9, v3, v2, vcc
; %bb.354:                              ;   in Loop: Header=BB8_327 Depth=2
	s_or_b64 exec, exec, s[22:23]
	v_mov_b32_e32 v3, v17
	v_lshlrev_b32_e32 v2, 16, v13
	v_lshlrev_b32_e32 v4, 16, v3
	v_pk_mul_f32 v[4:5], v[2:3], v[4:5] op_sel_hi:[0,1]
	v_and_b32_e32 v2, 0x7f800000, v4
	v_cmp_ne_u32_e32 vcc, s70, v2
                                        ; implicit-def: $vgpr11
	s_and_saveexec_b64 s[22:23], vcc
	s_xor_b64 s[22:23], exec, s[22:23]
; %bb.355:                              ;   in Loop: Header=BB8_327 Depth=2
	v_bfe_u32 v2, v4, 16, 1
	v_add3_u32 v11, v4, v2, s71
                                        ; implicit-def: $vgpr4_vgpr5
; %bb.356:                              ;   in Loop: Header=BB8_327 Depth=2
	s_andn2_saveexec_b64 s[22:23], s[22:23]
; %bb.357:                              ;   in Loop: Header=BB8_327 Depth=2
	v_or_b32_e32 v2, 0x10000, v4
	v_cmp_eq_u32_sdwa vcc, v4, v55 src0_sel:WORD_0 src1_sel:DWORD
	s_nop 1
	v_cndmask_b32_e32 v11, v2, v4, vcc
; %bb.358:                              ;   in Loop: Header=BB8_327 Depth=2
	s_or_b64 exec, exec, s[22:23]
	v_and_b32_e32 v2, 0xffff0000, v13
	v_and_b32_e32 v4, 0xffff0000, v3
	v_pk_mul_f32 v[2:3], v[2:3], v[4:5] op_sel_hi:[0,1]
	v_and_b32_e32 v3, 0x7f800000, v2
	v_cmp_ne_u32_e32 vcc, s70, v3
                                        ; implicit-def: $vgpr4
	s_and_saveexec_b64 s[22:23], vcc
	s_xor_b64 s[22:23], exec, s[22:23]
; %bb.359:                              ;   in Loop: Header=BB8_327 Depth=2
	v_bfe_u32 v3, v2, 16, 1
	v_add3_u32 v4, v2, v3, s71
                                        ; implicit-def: $vgpr2_vgpr3
; %bb.360:                              ;   in Loop: Header=BB8_327 Depth=2
	s_andn2_saveexec_b64 s[22:23], s[22:23]
; %bb.361:                              ;   in Loop: Header=BB8_327 Depth=2
	v_or_b32_e32 v3, 0x10000, v2
	v_cmp_eq_u32_sdwa vcc, v2, v55 src0_sel:WORD_0 src1_sel:DWORD
	s_nop 1
	v_cndmask_b32_e32 v4, v3, v2, vcc
; %bb.362:                              ;   in Loop: Header=BB8_327 Depth=2
	s_or_b64 exec, exec, s[22:23]
	v_lshrrev_b32_e32 v2, 16, v6
	v_and_or_b32 v7, v7, s72, v2
	v_lshrrev_b32_e32 v2, 16, v28
	v_and_or_b32 v6, v10, s72, v2
	;; [unrolled: 2-line block ×4, first 2 shown]
	scratch_store_dwordx4 off, v[6:9], s33 offset:176
	global_store_dwordx4 v[0:1], v[6:9], off nt
	v_lshl_add_u64 v[0:1], v[44:45], 0, v[0:1]
.LBB8_363:                              ;   in Loop: Header=BB8_327 Depth=2
	s_or_b64 exec, exec, s[20:21]
	v_accvgpr_read_b32 v2, a36
	v_accvgpr_read_b32 v3, a37
	v_lshl_add_u64 v[18:19], v[18:19], 0, v[2:3]
	v_lshl_add_u64 v[20:21], v[20:21], 0, v[2:3]
	v_accvgpr_read_b32 v2, a35
	v_sub_u32_e32 v27, v27, v2
	v_cmp_lt_i32_e64 s[58:59], 15, v27
	s_and_saveexec_b64 s[60:61], s[58:59]
	s_cbranch_execz .LBB8_366
; %bb.364:                              ;   in Loop: Header=BB8_327 Depth=2
	s_add_i32 s20, s33, 0xb0
	v_mov_b32_e32 v2, s20
	s_mov_b64 s[64:65], 0
	s_mov_b64 s[62:63], -1
.LBB8_365:                              ;   Parent Loop BB8_49 Depth=1
                                        ;     Parent Loop BB8_327 Depth=2
                                        ; =>    This Inner Loop Header: Depth=3
	s_cmp_eq_u32 s64, 1
	s_cselect_b64 vcc, -1, 0
	v_cndmask_b32_e32 v9, v19, v21, vcc
	v_cndmask_b32_e32 v8, v18, v20, vcc
	global_load_dwordx4 v[4:7], v[8:9], off nt
	s_cmp_eq_u32 s64, 0
	v_lshl_add_u64 v[8:9], v[8:9], 0, s[38:39]
	s_cselect_b64 s[20:21], -1, 0
	s_and_b64 s[22:23], exec, s[62:63]
	s_mov_b64 s[64:65], 1
	s_mov_b64 s[62:63], 0
	v_cndmask_b32_e64 v19, v19, v9, s[20:21]
	v_cndmask_b32_e64 v18, v18, v8, s[20:21]
	v_cndmask_b32_e32 v21, v21, v9, vcc
	v_cndmask_b32_e32 v20, v20, v8, vcc
	s_mov_b64 vcc, s[22:23]
	s_waitcnt vmcnt(0)
	scratch_store_dwordx4 v2, v[4:7], off
	v_mov_b32_e32 v2, v30
	s_cbranch_vccnz .LBB8_365
.LBB8_366:                              ;   in Loop: Header=BB8_327 Depth=2
	s_or_b64 exec, exec, s[60:61]
	scratch_load_dwordx4 v[10:13], off, s33 offset:160
	scratch_load_dwordx4 v[14:17], off, s33 offset:144
                                        ; implicit-def: $vgpr28
	s_waitcnt vmcnt(1)
	v_lshlrev_b32_e32 v2, 16, v10
	s_waitcnt vmcnt(0)
	v_lshlrev_b32_e32 v4, 16, v14
	v_pk_mul_f32 v[2:3], v[2:3], v[4:5] op_sel_hi:[0,1]
	v_and_b32_e32 v3, 0x7f800000, v2
	v_cmp_ne_u32_e32 vcc, s70, v3
	s_and_saveexec_b64 s[20:21], vcc
	s_xor_b64 s[20:21], exec, s[20:21]
; %bb.367:                              ;   in Loop: Header=BB8_327 Depth=2
	v_bfe_u32 v3, v2, 16, 1
	v_add3_u32 v28, v2, v3, s71
                                        ; implicit-def: $vgpr2_vgpr3
; %bb.368:                              ;   in Loop: Header=BB8_327 Depth=2
	s_andn2_saveexec_b64 s[20:21], s[20:21]
; %bb.369:                              ;   in Loop: Header=BB8_327 Depth=2
	v_or_b32_e32 v3, 0x10000, v2
	v_cmp_eq_u32_sdwa vcc, v2, v55 src0_sel:WORD_0 src1_sel:DWORD
	s_nop 1
	v_cndmask_b32_e32 v28, v3, v2, vcc
; %bb.370:                              ;   in Loop: Header=BB8_327 Depth=2
	s_or_b64 exec, exec, s[20:21]
	v_and_b32_e32 v2, 0xffff0000, v10
	v_and_b32_e32 v4, 0xffff0000, v14
	v_pk_mul_f32 v[2:3], v[2:3], v[4:5] op_sel_hi:[0,1]
	v_and_b32_e32 v3, 0x7f800000, v2
	v_cmp_ne_u32_e32 vcc, s70, v3
                                        ; implicit-def: $vgpr10
	s_and_saveexec_b64 s[20:21], vcc
	s_xor_b64 s[20:21], exec, s[20:21]
; %bb.371:                              ;   in Loop: Header=BB8_327 Depth=2
	v_bfe_u32 v3, v2, 16, 1
	v_add3_u32 v10, v2, v3, s71
                                        ; implicit-def: $vgpr2_vgpr3
; %bb.372:                              ;   in Loop: Header=BB8_327 Depth=2
	s_andn2_saveexec_b64 s[20:21], s[20:21]
; %bb.373:                              ;   in Loop: Header=BB8_327 Depth=2
	v_or_b32_e32 v3, 0x10000, v2
	v_cmp_eq_u32_sdwa vcc, v2, v55 src0_sel:WORD_0 src1_sel:DWORD
	s_nop 1
	v_cndmask_b32_e32 v10, v3, v2, vcc
; %bb.374:                              ;   in Loop: Header=BB8_327 Depth=2
	s_or_b64 exec, exec, s[20:21]
	v_mov_b32_e32 v3, v11
	v_lshlrev_b32_e32 v2, 16, v3
	v_lshlrev_b32_e32 v4, 16, v15
	v_pk_mul_f32 v[4:5], v[2:3], v[4:5] op_sel_hi:[0,1]
	v_and_b32_e32 v2, 0x7f800000, v4
	v_cmp_ne_u32_e32 vcc, s70, v2
                                        ; implicit-def: $vgpr6
	s_and_saveexec_b64 s[20:21], vcc
	s_xor_b64 s[20:21], exec, s[20:21]
; %bb.375:                              ;   in Loop: Header=BB8_327 Depth=2
	v_bfe_u32 v2, v4, 16, 1
	v_add3_u32 v6, v4, v2, s71
                                        ; implicit-def: $vgpr4_vgpr5
; %bb.376:                              ;   in Loop: Header=BB8_327 Depth=2
	s_andn2_saveexec_b64 s[20:21], s[20:21]
; %bb.377:                              ;   in Loop: Header=BB8_327 Depth=2
	v_or_b32_e32 v2, 0x10000, v4
	v_cmp_eq_u32_sdwa vcc, v4, v55 src0_sel:WORD_0 src1_sel:DWORD
	s_nop 1
	v_cndmask_b32_e32 v6, v2, v4, vcc
; %bb.378:                              ;   in Loop: Header=BB8_327 Depth=2
	s_or_b64 exec, exec, s[20:21]
	v_and_b32_e32 v2, 0xffff0000, v3
	v_and_b32_e32 v4, 0xffff0000, v15
	v_pk_mul_f32 v[2:3], v[2:3], v[4:5] op_sel_hi:[0,1]
	v_and_b32_e32 v3, 0x7f800000, v2
	v_cmp_ne_u32_e32 vcc, s70, v3
                                        ; implicit-def: $vgpr7
	s_and_saveexec_b64 s[20:21], vcc
	s_xor_b64 s[20:21], exec, s[20:21]
; %bb.379:                              ;   in Loop: Header=BB8_327 Depth=2
	v_bfe_u32 v3, v2, 16, 1
	v_add3_u32 v7, v2, v3, s71
                                        ; implicit-def: $vgpr2_vgpr3
; %bb.380:                              ;   in Loop: Header=BB8_327 Depth=2
	s_andn2_saveexec_b64 s[20:21], s[20:21]
; %bb.381:                              ;   in Loop: Header=BB8_327 Depth=2
	v_or_b32_e32 v3, 0x10000, v2
	v_cmp_eq_u32_sdwa vcc, v2, v55 src0_sel:WORD_0 src1_sel:DWORD
	s_nop 1
	v_cndmask_b32_e32 v7, v3, v2, vcc
; %bb.382:                              ;   in Loop: Header=BB8_327 Depth=2
	s_or_b64 exec, exec, s[20:21]
	v_lshlrev_b32_e32 v2, 16, v12
	v_lshlrev_b32_e32 v4, 16, v16
	v_pk_mul_f32 v[2:3], v[2:3], v[4:5] op_sel_hi:[0,1]
	v_and_b32_e32 v3, 0x7f800000, v2
	v_cmp_ne_u32_e32 vcc, s70, v3
                                        ; implicit-def: $vgpr8
	s_and_saveexec_b64 s[20:21], vcc
	s_xor_b64 s[20:21], exec, s[20:21]
; %bb.383:                              ;   in Loop: Header=BB8_327 Depth=2
	v_bfe_u32 v3, v2, 16, 1
	v_add3_u32 v8, v2, v3, s71
                                        ; implicit-def: $vgpr2_vgpr3
; %bb.384:                              ;   in Loop: Header=BB8_327 Depth=2
	s_andn2_saveexec_b64 s[20:21], s[20:21]
; %bb.385:                              ;   in Loop: Header=BB8_327 Depth=2
	v_or_b32_e32 v3, 0x10000, v2
	v_cmp_eq_u32_sdwa vcc, v2, v55 src0_sel:WORD_0 src1_sel:DWORD
	s_nop 1
	v_cndmask_b32_e32 v8, v3, v2, vcc
; %bb.386:                              ;   in Loop: Header=BB8_327 Depth=2
	s_or_b64 exec, exec, s[20:21]
	v_and_b32_e32 v2, 0xffff0000, v12
	v_and_b32_e32 v4, 0xffff0000, v16
	v_pk_mul_f32 v[2:3], v[2:3], v[4:5] op_sel_hi:[0,1]
	v_and_b32_e32 v3, 0x7f800000, v2
	v_cmp_ne_u32_e32 vcc, s70, v3
                                        ; implicit-def: $vgpr9
	s_and_saveexec_b64 s[20:21], vcc
	s_xor_b64 s[20:21], exec, s[20:21]
; %bb.387:                              ;   in Loop: Header=BB8_327 Depth=2
	v_bfe_u32 v3, v2, 16, 1
	v_add3_u32 v9, v2, v3, s71
                                        ; implicit-def: $vgpr2_vgpr3
; %bb.388:                              ;   in Loop: Header=BB8_327 Depth=2
	s_andn2_saveexec_b64 s[20:21], s[20:21]
; %bb.389:                              ;   in Loop: Header=BB8_327 Depth=2
	v_or_b32_e32 v3, 0x10000, v2
	v_cmp_eq_u32_sdwa vcc, v2, v55 src0_sel:WORD_0 src1_sel:DWORD
	s_nop 1
	v_cndmask_b32_e32 v9, v3, v2, vcc
; %bb.390:                              ;   in Loop: Header=BB8_327 Depth=2
	s_or_b64 exec, exec, s[20:21]
	v_mov_b32_e32 v3, v17
	v_lshlrev_b32_e32 v2, 16, v13
	v_lshlrev_b32_e32 v4, 16, v3
	v_pk_mul_f32 v[4:5], v[2:3], v[4:5] op_sel_hi:[0,1]
	v_and_b32_e32 v2, 0x7f800000, v4
	v_cmp_ne_u32_e32 vcc, s70, v2
                                        ; implicit-def: $vgpr11
	s_and_saveexec_b64 s[20:21], vcc
	s_xor_b64 s[20:21], exec, s[20:21]
; %bb.391:                              ;   in Loop: Header=BB8_327 Depth=2
	v_bfe_u32 v2, v4, 16, 1
	v_add3_u32 v11, v4, v2, s71
                                        ; implicit-def: $vgpr4_vgpr5
; %bb.392:                              ;   in Loop: Header=BB8_327 Depth=2
	s_andn2_saveexec_b64 s[20:21], s[20:21]
; %bb.393:                              ;   in Loop: Header=BB8_327 Depth=2
	v_or_b32_e32 v2, 0x10000, v4
	v_cmp_eq_u32_sdwa vcc, v4, v55 src0_sel:WORD_0 src1_sel:DWORD
	s_nop 1
	v_cndmask_b32_e32 v11, v2, v4, vcc
; %bb.394:                              ;   in Loop: Header=BB8_327 Depth=2
	s_or_b64 exec, exec, s[20:21]
	v_and_b32_e32 v2, 0xffff0000, v13
	v_and_b32_e32 v4, 0xffff0000, v3
	v_pk_mul_f32 v[2:3], v[2:3], v[4:5] op_sel_hi:[0,1]
	v_and_b32_e32 v3, 0x7f800000, v2
	v_cmp_ne_u32_e32 vcc, s70, v3
                                        ; implicit-def: $vgpr4
	s_and_saveexec_b64 s[20:21], vcc
	s_xor_b64 s[20:21], exec, s[20:21]
; %bb.395:                              ;   in Loop: Header=BB8_327 Depth=2
	v_bfe_u32 v3, v2, 16, 1
	v_add3_u32 v4, v2, v3, s71
                                        ; implicit-def: $vgpr2_vgpr3
; %bb.396:                              ;   in Loop: Header=BB8_327 Depth=2
	s_andn2_saveexec_b64 s[20:21], s[20:21]
; %bb.397:                              ;   in Loop: Header=BB8_327 Depth=2
	v_or_b32_e32 v3, 0x10000, v2
	v_cmp_eq_u32_sdwa vcc, v2, v55 src0_sel:WORD_0 src1_sel:DWORD
	s_nop 1
	v_cndmask_b32_e32 v4, v3, v2, vcc
; %bb.398:                              ;   in Loop: Header=BB8_327 Depth=2
	s_or_b64 exec, exec, s[20:21]
	v_accvgpr_read_b32 v2, a26
	v_sub_u32_e32 v26, v26, v2
	v_lshrrev_b32_e32 v2, 16, v6
	v_and_or_b32 v7, v7, s72, v2
	v_lshrrev_b32_e32 v2, 16, v28
	v_and_or_b32 v6, v10, s72, v2
	;; [unrolled: 2-line block ×4, first 2 shown]
	scratch_store_dwordx4 off, v[6:9], s33 offset:144
	global_store_dwordx4 v[0:1], v[6:9], off nt
	v_lshl_add_u64 v[0:1], v[0:1], 0, s[38:39]
	v_accvgpr_read_b32 v3, a27
	s_and_saveexec_b64 s[20:21], s[58:59]
	s_cbranch_execz .LBB8_326
; %bb.399:                              ;   in Loop: Header=BB8_327 Depth=2
	v_accvgpr_read_b32 v2, a36
	v_accvgpr_read_b32 v3, a37
	v_lshl_add_u64 v[18:19], v[18:19], 0, v[2:3]
	v_lshl_add_u64 v[20:21], v[20:21], 0, v[2:3]
	v_lshl_add_u64 v[0:1], v[0:1], 0, v[2:3]
	v_accvgpr_read_b32 v2, a35
	v_sub_u32_e32 v27, v27, v2
	v_accvgpr_read_b32 v2, a26
	v_sub_u32_e32 v26, v26, v2
	v_accvgpr_read_b32 v3, a27
	s_branch .LBB8_326
.LBB8_400:                              ;   in Loop: Header=BB8_49 Depth=1
	s_or_b64 exec, exec, s[54:55]
	s_and_b64 s[22:23], s[56:57], exec
.LBB8_401:                              ;   in Loop: Header=BB8_49 Depth=1
	s_or_b64 exec, exec, s[52:53]
	s_mov_b64 s[20:21], exec
	s_and_b64 s[22:23], s[20:21], s[22:23]
	v_accvgpr_read_b32 v19, a46
	s_mov_b64 exec, s[22:23]
	s_cbranch_execz .LBB8_435
; %bb.402:                              ;   in Loop: Header=BB8_49 Depth=1
	scratch_load_dwordx4 v[10:13], off, s33 offset:192
	scratch_load_dwordx4 v[14:17], off, s33 offset:176
                                        ; implicit-def: $vgpr18
	s_waitcnt vmcnt(0)
	v_lshlrev_b32_e32 v2, 16, v10
	v_lshlrev_b32_e32 v4, 16, v14
	v_pk_mul_f32 v[2:3], v[2:3], v[4:5] op_sel_hi:[0,1]
	v_and_b32_e32 v3, 0x7f800000, v2
	v_cmp_ne_u32_e32 vcc, s70, v3
	s_and_saveexec_b64 s[22:23], vcc
	s_xor_b64 s[22:23], exec, s[22:23]
; %bb.403:                              ;   in Loop: Header=BB8_49 Depth=1
	v_bfe_u32 v3, v2, 16, 1
	v_add3_u32 v18, v2, v3, s71
                                        ; implicit-def: $vgpr2_vgpr3
; %bb.404:                              ;   in Loop: Header=BB8_49 Depth=1
	s_andn2_saveexec_b64 s[22:23], s[22:23]
; %bb.405:                              ;   in Loop: Header=BB8_49 Depth=1
	v_or_b32_e32 v3, 0x10000, v2
	v_cmp_eq_u32_sdwa vcc, v2, v55 src0_sel:WORD_0 src1_sel:DWORD
	s_nop 1
	v_cndmask_b32_e32 v18, v3, v2, vcc
; %bb.406:                              ;   in Loop: Header=BB8_49 Depth=1
	s_or_b64 exec, exec, s[22:23]
	v_and_b32_e32 v2, 0xffff0000, v10
	v_and_b32_e32 v4, 0xffff0000, v14
	v_pk_mul_f32 v[2:3], v[2:3], v[4:5] op_sel_hi:[0,1]
	v_and_b32_e32 v3, 0x7f800000, v2
	v_cmp_ne_u32_e32 vcc, s70, v3
                                        ; implicit-def: $vgpr10
	s_and_saveexec_b64 s[22:23], vcc
	s_xor_b64 s[22:23], exec, s[22:23]
; %bb.407:                              ;   in Loop: Header=BB8_49 Depth=1
	v_bfe_u32 v3, v2, 16, 1
	v_add3_u32 v10, v2, v3, s71
                                        ; implicit-def: $vgpr2_vgpr3
; %bb.408:                              ;   in Loop: Header=BB8_49 Depth=1
	s_andn2_saveexec_b64 s[22:23], s[22:23]
; %bb.409:                              ;   in Loop: Header=BB8_49 Depth=1
	v_or_b32_e32 v3, 0x10000, v2
	v_cmp_eq_u32_sdwa vcc, v2, v55 src0_sel:WORD_0 src1_sel:DWORD
	s_nop 1
	v_cndmask_b32_e32 v10, v3, v2, vcc
; %bb.410:                              ;   in Loop: Header=BB8_49 Depth=1
	s_or_b64 exec, exec, s[22:23]
	v_mov_b32_e32 v3, v11
	v_lshlrev_b32_e32 v2, 16, v3
	v_lshlrev_b32_e32 v4, 16, v15
	v_pk_mul_f32 v[4:5], v[2:3], v[4:5] op_sel_hi:[0,1]
	v_and_b32_e32 v2, 0x7f800000, v4
	v_cmp_ne_u32_e32 vcc, s70, v2
                                        ; implicit-def: $vgpr6
	s_and_saveexec_b64 s[22:23], vcc
	s_xor_b64 s[22:23], exec, s[22:23]
; %bb.411:                              ;   in Loop: Header=BB8_49 Depth=1
	v_bfe_u32 v2, v4, 16, 1
	v_add3_u32 v6, v4, v2, s71
                                        ; implicit-def: $vgpr4_vgpr5
; %bb.412:                              ;   in Loop: Header=BB8_49 Depth=1
	s_andn2_saveexec_b64 s[22:23], s[22:23]
; %bb.413:                              ;   in Loop: Header=BB8_49 Depth=1
	v_or_b32_e32 v2, 0x10000, v4
	v_cmp_eq_u32_sdwa vcc, v4, v55 src0_sel:WORD_0 src1_sel:DWORD
	s_nop 1
	v_cndmask_b32_e32 v6, v2, v4, vcc
; %bb.414:                              ;   in Loop: Header=BB8_49 Depth=1
	s_or_b64 exec, exec, s[22:23]
	v_and_b32_e32 v2, 0xffff0000, v3
	v_and_b32_e32 v4, 0xffff0000, v15
	v_pk_mul_f32 v[2:3], v[2:3], v[4:5] op_sel_hi:[0,1]
	v_and_b32_e32 v3, 0x7f800000, v2
	v_cmp_ne_u32_e32 vcc, s70, v3
                                        ; implicit-def: $vgpr7
	s_and_saveexec_b64 s[22:23], vcc
	s_xor_b64 s[22:23], exec, s[22:23]
; %bb.415:                              ;   in Loop: Header=BB8_49 Depth=1
	v_bfe_u32 v3, v2, 16, 1
	v_add3_u32 v7, v2, v3, s71
                                        ; implicit-def: $vgpr2_vgpr3
; %bb.416:                              ;   in Loop: Header=BB8_49 Depth=1
	s_andn2_saveexec_b64 s[22:23], s[22:23]
; %bb.417:                              ;   in Loop: Header=BB8_49 Depth=1
	v_or_b32_e32 v3, 0x10000, v2
	v_cmp_eq_u32_sdwa vcc, v2, v55 src0_sel:WORD_0 src1_sel:DWORD
	s_nop 1
	v_cndmask_b32_e32 v7, v3, v2, vcc
; %bb.418:                              ;   in Loop: Header=BB8_49 Depth=1
	s_or_b64 exec, exec, s[22:23]
	v_lshlrev_b32_e32 v2, 16, v12
	v_lshlrev_b32_e32 v4, 16, v16
	v_pk_mul_f32 v[2:3], v[2:3], v[4:5] op_sel_hi:[0,1]
	v_and_b32_e32 v3, 0x7f800000, v2
	v_cmp_ne_u32_e32 vcc, s70, v3
                                        ; implicit-def: $vgpr8
	s_and_saveexec_b64 s[22:23], vcc
	s_xor_b64 s[22:23], exec, s[22:23]
; %bb.419:                              ;   in Loop: Header=BB8_49 Depth=1
	v_bfe_u32 v3, v2, 16, 1
	v_add3_u32 v8, v2, v3, s71
                                        ; implicit-def: $vgpr2_vgpr3
; %bb.420:                              ;   in Loop: Header=BB8_49 Depth=1
	s_andn2_saveexec_b64 s[22:23], s[22:23]
; %bb.421:                              ;   in Loop: Header=BB8_49 Depth=1
	v_or_b32_e32 v3, 0x10000, v2
	v_cmp_eq_u32_sdwa vcc, v2, v55 src0_sel:WORD_0 src1_sel:DWORD
	s_nop 1
	v_cndmask_b32_e32 v8, v3, v2, vcc
; %bb.422:                              ;   in Loop: Header=BB8_49 Depth=1
	s_or_b64 exec, exec, s[22:23]
	v_and_b32_e32 v2, 0xffff0000, v12
	v_and_b32_e32 v4, 0xffff0000, v16
	v_pk_mul_f32 v[2:3], v[2:3], v[4:5] op_sel_hi:[0,1]
	v_and_b32_e32 v3, 0x7f800000, v2
	v_cmp_ne_u32_e32 vcc, s70, v3
                                        ; implicit-def: $vgpr9
	s_and_saveexec_b64 s[22:23], vcc
	s_xor_b64 s[22:23], exec, s[22:23]
; %bb.423:                              ;   in Loop: Header=BB8_49 Depth=1
	v_bfe_u32 v3, v2, 16, 1
	v_add3_u32 v9, v2, v3, s71
                                        ; implicit-def: $vgpr2_vgpr3
; %bb.424:                              ;   in Loop: Header=BB8_49 Depth=1
	s_andn2_saveexec_b64 s[22:23], s[22:23]
; %bb.425:                              ;   in Loop: Header=BB8_49 Depth=1
	v_or_b32_e32 v3, 0x10000, v2
	v_cmp_eq_u32_sdwa vcc, v2, v55 src0_sel:WORD_0 src1_sel:DWORD
	s_nop 1
	v_cndmask_b32_e32 v9, v3, v2, vcc
; %bb.426:                              ;   in Loop: Header=BB8_49 Depth=1
	s_or_b64 exec, exec, s[22:23]
	v_mov_b32_e32 v3, v17
	v_lshlrev_b32_e32 v2, 16, v13
	v_lshlrev_b32_e32 v4, 16, v3
	v_pk_mul_f32 v[4:5], v[2:3], v[4:5] op_sel_hi:[0,1]
	v_and_b32_e32 v2, 0x7f800000, v4
	v_cmp_ne_u32_e32 vcc, s70, v2
                                        ; implicit-def: $vgpr11
	s_and_saveexec_b64 s[22:23], vcc
	s_xor_b64 s[22:23], exec, s[22:23]
; %bb.427:                              ;   in Loop: Header=BB8_49 Depth=1
	v_bfe_u32 v2, v4, 16, 1
	v_add3_u32 v11, v4, v2, s71
                                        ; implicit-def: $vgpr4_vgpr5
; %bb.428:                              ;   in Loop: Header=BB8_49 Depth=1
	s_andn2_saveexec_b64 s[22:23], s[22:23]
; %bb.429:                              ;   in Loop: Header=BB8_49 Depth=1
	v_or_b32_e32 v2, 0x10000, v4
	v_cmp_eq_u32_sdwa vcc, v4, v55 src0_sel:WORD_0 src1_sel:DWORD
	s_nop 1
	v_cndmask_b32_e32 v11, v2, v4, vcc
; %bb.430:                              ;   in Loop: Header=BB8_49 Depth=1
	s_or_b64 exec, exec, s[22:23]
	v_and_b32_e32 v2, 0xffff0000, v13
	v_and_b32_e32 v4, 0xffff0000, v3
	v_pk_mul_f32 v[2:3], v[2:3], v[4:5] op_sel_hi:[0,1]
	v_and_b32_e32 v3, 0x7f800000, v2
	v_cmp_ne_u32_e32 vcc, s70, v3
                                        ; implicit-def: $vgpr4
	s_and_saveexec_b64 s[22:23], vcc
	s_xor_b64 s[22:23], exec, s[22:23]
; %bb.431:                              ;   in Loop: Header=BB8_49 Depth=1
	v_bfe_u32 v3, v2, 16, 1
	v_add3_u32 v4, v2, v3, s71
                                        ; implicit-def: $vgpr2_vgpr3
; %bb.432:                              ;   in Loop: Header=BB8_49 Depth=1
	s_andn2_saveexec_b64 s[22:23], s[22:23]
; %bb.433:                              ;   in Loop: Header=BB8_49 Depth=1
	v_or_b32_e32 v3, 0x10000, v2
	v_cmp_eq_u32_sdwa vcc, v2, v55 src0_sel:WORD_0 src1_sel:DWORD
	s_nop 1
	v_cndmask_b32_e32 v4, v3, v2, vcc
; %bb.434:                              ;   in Loop: Header=BB8_49 Depth=1
	s_or_b64 exec, exec, s[22:23]
	v_lshrrev_b32_e32 v2, 16, v6
	v_and_or_b32 v7, v7, s72, v2
	v_lshrrev_b32_e32 v2, 16, v18
	v_and_or_b32 v6, v10, s72, v2
	;; [unrolled: 2-line block ×4, first 2 shown]
	global_store_dwordx4 v[0:1], v[6:9], off nt
.LBB8_435:                              ;   in Loop: Header=BB8_49 Depth=1
	s_or_b64 exec, exec, s[20:21]
	v_and_b32_e32 v1, 14, v19
	v_cndmask_b32_e64 v0, v25, v1, s[18:19]
	v_accvgpr_write_b32 a46, v0
	v_cmp_ne_u32_e32 vcc, 0, v0
	s_mov_b64 s[20:21], 0
	v_mov_b32_e32 v12, 0
                                        ; implicit-def: $vgpr13
                                        ; implicit-def: $vgpr0
                                        ; implicit-def: $vgpr6_vgpr7
	s_and_saveexec_b64 s[22:23], vcc
	s_cbranch_execz .LBB8_437
; %bb.436:                              ;   in Loop: Header=BB8_49 Depth=1
	v_sub_u32_e32 v0, v25, v1
	v_cndmask_b32_e64 v0, 0, v0, s[18:19]
	v_add3_u32 v12, v24, v22, v0
	v_cmp_lt_i32_e32 vcc, 0, v26
	v_accvgpr_read_b32 v0, a26
	v_accvgpr_read_b32 v1, a27
	v_cndmask_b32_e32 v0, 0, v0, vcc
	v_sub_u32_e32 v0, v0, v26
	v_lshl_add_u32 v1, v0, 6, v23
	v_ashrrev_i32_e32 v0, 31, v1
	v_lshrrev_b32_e32 v0, 26, v0
	s_trap 2
	ds_read_b64 v[6:7], v0
	v_add_u32_e32 v2, v1, v0
	v_ashrrev_i32_e32 v0, 6, v2
	v_and_b32_e32 v2, 0xffffffc0, v2
	s_mov_b64 s[20:21], exec
	v_sub_u32_e32 v13, v1, v2
.LBB8_437:                              ;   in Loop: Header=BB8_49 Depth=1
	s_or_b64 exec, exec, s[22:23]
	s_and_b64 s[18:19], s[20:21], exec
.LBB8_438:                              ;   in Loop: Header=BB8_49 Depth=1
	s_or_b64 exec, exec, s[50:51]
	s_waitcnt lgkmcnt(0)
	v_accvgpr_write_b32 a49, v7
	v_accvgpr_write_b32 a48, v6
	v_accvgpr_read_b32 v20, a39
	v_accvgpr_read_b32 v60, a46
	s_and_saveexec_b64 s[22:23], s[18:19]
	s_cbranch_execz .LBB8_571
.LBB8_439:                              ;   in Loop: Header=BB8_49 Depth=1
	v_lshlrev_b32_e32 v1, 10, v0
	v_lshlrev_b32_e32 v2, 1, v13
	v_add3_u32 v4, v12, v2, v1
	v_ashrrev_i32_e32 v1, 31, v60
	v_lshrrev_b32_e32 v1, 22, v1
	v_add_u32_e32 v1, v60, v1
	v_ashrrev_i32_e32 v14, 10, v1
	v_sub_u32_e32 v15, v14, v0
	v_accvgpr_read_b32 v0, a48
	v_ashrrev_i32_e32 v5, 31, v4
	v_accvgpr_read_b32 v1, a49
	v_accvgpr_write_b32 a1, v31
	v_accvgpr_write_b32 a0, v29
	v_lshl_add_u64 v[0:1], v[0:1], 0, v[4:5]
	v_cmp_lt_i32_e32 vcc, 0, v15
	s_mov_b64 s[20:21], 0
	v_mov_b32_e32 v32, 0
	v_mov_b32_e32 v29, 0
	v_mov_b32_e32 v8, 0
	v_mov_b32_e32 v9, 0
	v_mov_b32_e32 v6, 0
	v_mov_b32_e32 v16, 0
	v_mov_b32_e32 v10, 0
	v_mov_b32_e32 v2, 0
	v_mov_b32_e32 v33, 0
	v_mov_b32_e32 v30, 0
	v_mov_b32_e32 v27, 0
	v_mov_b32_e32 v18, 0
	v_mov_b32_e32 v7, 0
	v_mov_b32_e32 v17, 0
	v_mov_b32_e32 v11, 0
	v_mov_b32_e32 v3, 0
	s_and_saveexec_b64 s[18:19], vcc
	s_cbranch_execz .LBB8_511
; %bb.440:                              ;   in Loop: Header=BB8_49 Depth=1
	s_trap 2
	ds_read_b128 v[6:9], v0
	v_mov_b32_e32 v40, v20
	s_mov_b64 s[52:53], 0
	s_mov_b64 s[50:51], 0
                                        ; implicit-def: $sgpr20_sgpr21
                                        ; implicit-def: $vgpr48
                                        ; implicit-def: $vgpr37
                                        ; implicit-def: $vgpr34
                                        ; implicit-def: $vgpr31
                                        ; implicit-def: $vgpr28
                                        ; implicit-def: $vgpr26
                                        ; implicit-def: $vgpr25
                                        ; implicit-def: $vgpr24
                                        ; implicit-def: $vgpr16
                                        ; implicit-def: $vgpr17
                                        ; implicit-def: $vgpr18
                                        ; implicit-def: $vgpr19
                                        ; implicit-def: $vgpr20
                                        ; implicit-def: $vgpr21
                                        ; implicit-def: $vgpr22
                                        ; implicit-def: $vgpr23
	s_waitcnt lgkmcnt(0)
	v_lshl_add_u64 v[2:3], v[6:7], 0, v[4:5]
	v_lshl_add_u64 v[10:11], v[8:9], 0, v[4:5]
	s_branch .LBB8_442
.LBB8_441:                              ;   in Loop: Header=BB8_442 Depth=2
	s_or_b64 exec, exec, s[54:55]
	flat_store_short_d16_hi v[0:1], v52 nt
	flat_store_short_d16_hi v[0:1], v53 offset:128 nt
	flat_store_short_d16_hi v[0:1], v6 offset:256 nt
	;; [unrolled: 1-line block ×7, first 2 shown]
	v_accvgpr_read_b32 v6, a36
	v_accvgpr_read_b32 v7, a37
	v_lshl_add_u64 v[4:5], v[2:3], 0, v[6:7]
	v_cndmask_b32_e64 v3, v3, v5, s[52:53]
	v_cndmask_b32_e64 v2, v2, v4, s[52:53]
	v_accvgpr_read_b32 v4, a26
	v_cndmask_b32_e64 v4, 0, v4, s[52:53]
	v_sub_u32_e32 v15, v15, v4
	v_cmp_gt_i32_e32 vcc, 1, v15
	v_mov_b32_e32 v8, 0x400
	s_or_b64 s[50:51], vcc, s[50:51]
	v_lshl_add_u64 v[6:7], v[10:11], 0, v[6:7]
	v_cndmask_b32_e64 v9, 0, v45, s[52:53]
	v_cndmask_b32_e64 v8, v8, v44, s[52:53]
	s_andn2_b64 s[20:21], s[20:21], exec
	s_and_b64 vcc, s[52:53], exec
	v_lshl_add_u64 v[0:1], v[0:1], 0, v[8:9]
	v_cndmask_b32_e64 v11, v11, v7, s[52:53]
	v_cndmask_b32_e64 v10, v10, v6, s[52:53]
	s_or_b64 s[20:21], s[20:21], vcc
	v_accvgpr_read_b32 v5, a27
	s_andn2_b64 exec, exec, s[50:51]
	s_cbranch_execz .LBB8_510
.LBB8_442:                              ;   Parent Loop BB8_49 Depth=1
                                        ; =>  This Inner Loop Header: Depth=2
	flat_load_ushort v4, v[2:3] nt
	flat_load_ushort v54, v[2:3] offset:128 nt
	flat_load_ushort v50, v[2:3] offset:256 nt
	;; [unrolled: 1-line block ×7, first 2 shown]
	flat_load_ushort v5, v[10:11] nt
	flat_load_ushort v59, v[10:11] offset:128 nt
	flat_load_ushort v51, v[10:11] offset:256 nt
	;; [unrolled: 1-line block ×7, first 2 shown]
	s_and_saveexec_b64 s[54:55], s[52:53]
	s_cbranch_execz .LBB8_476
; %bb.443:                              ;   in Loop: Header=BB8_442 Depth=2
	v_lshlrev_b32_e32 v6, 16, v48
	v_lshlrev_b32_e32 v7, 16, v16
	v_mul_f32_e32 v6, v6, v7
	v_and_b32_e32 v7, 0x7f800000, v6
	v_cmp_ne_u32_e32 vcc, s70, v7
                                        ; implicit-def: $vgpr48
	s_and_saveexec_b64 s[52:53], vcc
	s_xor_b64 vcc, exec, s[52:53]
; %bb.444:                              ;   in Loop: Header=BB8_442 Depth=2
	v_bfe_u32 v7, v6, 16, 1
	v_add3_u32 v48, v6, v7, s71
                                        ; implicit-def: $vgpr6
; %bb.445:                              ;   in Loop: Header=BB8_442 Depth=2
	s_andn2_saveexec_b64 s[52:53], vcc
; %bb.446:                              ;   in Loop: Header=BB8_442 Depth=2
	v_or_b32_e32 v7, 0x10000, v6
	v_cmp_eq_u32_sdwa vcc, v6, v55 src0_sel:WORD_0 src1_sel:DWORD
	s_nop 1
	v_cndmask_b32_e32 v48, v7, v6, vcc
; %bb.447:                              ;   in Loop: Header=BB8_442 Depth=2
	s_or_b64 exec, exec, s[52:53]
	v_lshlrev_b32_e32 v6, 16, v37
	v_lshlrev_b32_e32 v7, 16, v17
	v_mul_f32_e32 v6, v6, v7
	v_and_b32_e32 v7, 0x7f800000, v6
	v_cmp_ne_u32_e32 vcc, s70, v7
                                        ; implicit-def: $vgpr37
	s_and_saveexec_b64 s[52:53], vcc
	s_xor_b64 vcc, exec, s[52:53]
; %bb.448:                              ;   in Loop: Header=BB8_442 Depth=2
	v_bfe_u32 v7, v6, 16, 1
	v_add3_u32 v37, v6, v7, s71
                                        ; implicit-def: $vgpr6
; %bb.449:                              ;   in Loop: Header=BB8_442 Depth=2
	s_andn2_saveexec_b64 s[52:53], vcc
; %bb.450:                              ;   in Loop: Header=BB8_442 Depth=2
	v_or_b32_e32 v7, 0x10000, v6
	v_cmp_eq_u32_sdwa vcc, v6, v55 src0_sel:WORD_0 src1_sel:DWORD
	s_nop 1
	v_cndmask_b32_e32 v37, v7, v6, vcc
; %bb.451:                              ;   in Loop: Header=BB8_442 Depth=2
	s_or_b64 exec, exec, s[52:53]
	v_lshlrev_b32_e32 v6, 16, v34
	v_lshlrev_b32_e32 v7, 16, v18
	v_mul_f32_e32 v7, v6, v7
	v_and_b32_e32 v6, 0x7f800000, v7
	v_cmp_ne_u32_e32 vcc, s70, v6
                                        ; implicit-def: $vgpr6
	s_and_saveexec_b64 s[52:53], vcc
	s_xor_b64 vcc, exec, s[52:53]
; %bb.452:                              ;   in Loop: Header=BB8_442 Depth=2
	v_bfe_u32 v6, v7, 16, 1
	v_add3_u32 v6, v7, v6, s71
                                        ; implicit-def: $vgpr7
; %bb.453:                              ;   in Loop: Header=BB8_442 Depth=2
	s_andn2_saveexec_b64 s[52:53], vcc
; %bb.454:                              ;   in Loop: Header=BB8_442 Depth=2
	v_or_b32_e32 v6, 0x10000, v7
	v_cmp_eq_u32_sdwa vcc, v7, v55 src0_sel:WORD_0 src1_sel:DWORD
	s_nop 1
	v_cndmask_b32_e32 v6, v6, v7, vcc
; %bb.455:                              ;   in Loop: Header=BB8_442 Depth=2
	s_or_b64 exec, exec, s[52:53]
	v_lshlrev_b32_e32 v7, 16, v31
	v_lshlrev_b32_e32 v8, 16, v19
	v_mul_f32_e32 v8, v7, v8
	v_and_b32_e32 v7, 0x7f800000, v8
	v_cmp_ne_u32_e32 vcc, s70, v7
                                        ; implicit-def: $vgpr7
	s_and_saveexec_b64 s[52:53], vcc
	s_xor_b64 vcc, exec, s[52:53]
; %bb.456:                              ;   in Loop: Header=BB8_442 Depth=2
	v_bfe_u32 v7, v8, 16, 1
	v_add3_u32 v7, v8, v7, s71
                                        ; implicit-def: $vgpr8
; %bb.457:                              ;   in Loop: Header=BB8_442 Depth=2
	s_andn2_saveexec_b64 s[52:53], vcc
; %bb.458:                              ;   in Loop: Header=BB8_442 Depth=2
	v_or_b32_e32 v7, 0x10000, v8
	v_cmp_eq_u32_sdwa vcc, v8, v55 src0_sel:WORD_0 src1_sel:DWORD
	s_nop 1
	v_cndmask_b32_e32 v7, v7, v8, vcc
; %bb.459:                              ;   in Loop: Header=BB8_442 Depth=2
	s_or_b64 exec, exec, s[52:53]
	v_lshlrev_b32_e32 v8, 16, v28
	v_lshlrev_b32_e32 v9, 16, v20
	v_mul_f32_e32 v9, v8, v9
	v_and_b32_e32 v8, 0x7f800000, v9
	v_cmp_ne_u32_e32 vcc, s70, v8
                                        ; implicit-def: $vgpr8
	s_and_saveexec_b64 s[52:53], vcc
	s_xor_b64 vcc, exec, s[52:53]
; %bb.460:                              ;   in Loop: Header=BB8_442 Depth=2
	v_bfe_u32 v8, v9, 16, 1
	v_add3_u32 v8, v9, v8, s71
                                        ; implicit-def: $vgpr9
; %bb.461:                              ;   in Loop: Header=BB8_442 Depth=2
	s_andn2_saveexec_b64 s[52:53], vcc
; %bb.462:                              ;   in Loop: Header=BB8_442 Depth=2
	v_or_b32_e32 v8, 0x10000, v9
	v_cmp_eq_u32_sdwa vcc, v9, v55 src0_sel:WORD_0 src1_sel:DWORD
	s_nop 1
	v_cndmask_b32_e32 v8, v8, v9, vcc
; %bb.463:                              ;   in Loop: Header=BB8_442 Depth=2
	s_or_b64 exec, exec, s[52:53]
	v_lshlrev_b32_e32 v9, 16, v26
	v_lshlrev_b32_e32 v26, 16, v21
	v_mul_f32_e32 v26, v9, v26
	v_and_b32_e32 v9, 0x7f800000, v26
	v_cmp_ne_u32_e32 vcc, s70, v9
                                        ; implicit-def: $vgpr9
	s_and_saveexec_b64 s[52:53], vcc
	s_xor_b64 vcc, exec, s[52:53]
; %bb.464:                              ;   in Loop: Header=BB8_442 Depth=2
	v_bfe_u32 v9, v26, 16, 1
	v_add3_u32 v9, v26, v9, s71
                                        ; implicit-def: $vgpr26
; %bb.465:                              ;   in Loop: Header=BB8_442 Depth=2
	s_andn2_saveexec_b64 s[52:53], vcc
; %bb.466:                              ;   in Loop: Header=BB8_442 Depth=2
	v_or_b32_e32 v9, 0x10000, v26
	v_cmp_eq_u32_sdwa vcc, v26, v55 src0_sel:WORD_0 src1_sel:DWORD
	s_nop 1
	v_cndmask_b32_e32 v9, v9, v26, vcc
; %bb.467:                              ;   in Loop: Header=BB8_442 Depth=2
	s_or_b64 exec, exec, s[52:53]
	v_lshlrev_b32_e32 v25, 16, v25
	v_lshlrev_b32_e32 v26, 16, v22
	v_mul_f32_e32 v26, v25, v26
	v_and_b32_e32 v25, 0x7f800000, v26
	v_cmp_ne_u32_e32 vcc, s70, v25
                                        ; implicit-def: $vgpr25
	s_and_saveexec_b64 s[52:53], vcc
	s_xor_b64 vcc, exec, s[52:53]
; %bb.468:                              ;   in Loop: Header=BB8_442 Depth=2
	v_bfe_u32 v25, v26, 16, 1
	v_add3_u32 v25, v26, v25, s71
                                        ; implicit-def: $vgpr26
; %bb.469:                              ;   in Loop: Header=BB8_442 Depth=2
	s_andn2_saveexec_b64 s[52:53], vcc
; %bb.470:                              ;   in Loop: Header=BB8_442 Depth=2
	v_or_b32_e32 v25, 0x10000, v26
	v_cmp_eq_u32_sdwa vcc, v26, v55 src0_sel:WORD_0 src1_sel:DWORD
	s_nop 1
	v_cndmask_b32_e32 v25, v25, v26, vcc
; %bb.471:                              ;   in Loop: Header=BB8_442 Depth=2
	s_or_b64 exec, exec, s[52:53]
	v_lshlrev_b32_e32 v24, 16, v24
	v_lshlrev_b32_e32 v26, 16, v23
	v_mul_f32_e32 v26, v24, v26
	v_and_b32_e32 v24, 0x7f800000, v26
	v_cmp_ne_u32_e32 vcc, s70, v24
                                        ; implicit-def: $vgpr24
	s_and_saveexec_b64 s[52:53], vcc
	s_xor_b64 vcc, exec, s[52:53]
; %bb.472:                              ;   in Loop: Header=BB8_442 Depth=2
	v_bfe_u32 v24, v26, 16, 1
	v_add3_u32 v24, v26, v24, s71
                                        ; implicit-def: $vgpr26
; %bb.473:                              ;   in Loop: Header=BB8_442 Depth=2
	s_andn2_saveexec_b64 s[52:53], vcc
; %bb.474:                              ;   in Loop: Header=BB8_442 Depth=2
	v_or_b32_e32 v24, 0x10000, v26
	v_cmp_eq_u32_sdwa vcc, v26, v55 src0_sel:WORD_0 src1_sel:DWORD
	s_nop 1
	v_cndmask_b32_e32 v24, v24, v26, vcc
; %bb.475:                              ;   in Loop: Header=BB8_442 Depth=2
	s_or_b64 exec, exec, s[52:53]
	v_lshrrev_b32_e32 v48, 16, v48
	v_lshrrev_b32_e32 v25, 16, v25
	;; [unrolled: 1-line block ×8, first 2 shown]
	flat_store_short v[0:1], v48 nt
	flat_store_short v[0:1], v37 offset:128 nt
	flat_store_short v[0:1], v34 offset:256 nt
	;; [unrolled: 1-line block ×7, first 2 shown]
	v_lshl_add_u64 v[0:1], v[0:1], 0, v[44:45]
.LBB8_476:                              ;   in Loop: Header=BB8_442 Depth=2
	s_or_b64 exec, exec, s[54:55]
	v_accvgpr_read_b32 v6, a26
	v_sub_u32_e32 v15, v15, v6
	v_lshl_add_u64 v[2:3], v[2:3], 0, v[44:45]
	v_lshl_add_u64 v[10:11], v[10:11], 0, v[44:45]
	v_cmp_lt_i32_e64 s[52:53], 0, v15
	v_accvgpr_read_b32 v7, a27
	s_and_saveexec_b64 vcc, s[52:53]
	s_cbranch_execz .LBB8_478
; %bb.477:                              ;   in Loop: Header=BB8_442 Depth=2
	flat_load_ushort v48, v[2:3] nt
	flat_load_ushort v37, v[2:3] offset:128 nt
	flat_load_ushort v34, v[2:3] offset:256 nt
	;; [unrolled: 1-line block ×7, first 2 shown]
	flat_load_ushort v16, v[10:11] nt
	flat_load_ushort v17, v[10:11] offset:128 nt
	flat_load_ushort v18, v[10:11] offset:256 nt
	;; [unrolled: 1-line block ×7, first 2 shown]
	v_lshl_add_u64 v[2:3], v[2:3], 0, s[38:39]
	v_lshl_add_u64 v[10:11], v[10:11], 0, s[38:39]
.LBB8_478:                              ;   in Loop: Header=BB8_442 Depth=2
	s_or_b64 exec, exec, vcc
	s_waitcnt vmcnt(0) lgkmcnt(0)
	v_lshlrev_b32_e32 v6, 16, v5
	v_lshlrev_b32_e32 v4, 16, v4
	v_pk_mul_f32 v[4:5], v[6:7], v[4:5] op_sel_hi:[0,1]
	v_and_b32_e32 v5, 0x7f800000, v4
	v_cmp_ne_u32_e32 vcc, s70, v5
                                        ; implicit-def: $vgpr52
	s_and_saveexec_b64 s[54:55], vcc
	s_xor_b64 vcc, exec, s[54:55]
; %bb.479:                              ;   in Loop: Header=BB8_442 Depth=2
	v_bfe_u32 v5, v4, 16, 1
	v_add3_u32 v52, v4, v5, s71
                                        ; implicit-def: $vgpr4_vgpr5
; %bb.480:                              ;   in Loop: Header=BB8_442 Depth=2
	s_andn2_saveexec_b64 s[54:55], vcc
; %bb.481:                              ;   in Loop: Header=BB8_442 Depth=2
	v_or_b32_e32 v5, 0x10000, v4
	v_cmp_eq_u32_sdwa vcc, v4, v55 src0_sel:WORD_0 src1_sel:DWORD
	s_nop 1
	v_cndmask_b32_e32 v52, v5, v4, vcc
; %bb.482:                              ;   in Loop: Header=BB8_442 Depth=2
	s_or_b64 exec, exec, s[54:55]
	v_lshlrev_b32_e32 v4, 16, v59
	v_lshlrev_b32_e32 v6, 16, v54
	v_pk_mul_f32 v[4:5], v[4:5], v[6:7] op_sel_hi:[0,1]
	v_and_b32_e32 v5, 0x7f800000, v4
	v_cmp_ne_u32_e32 vcc, s70, v5
                                        ; implicit-def: $vgpr53
	s_and_saveexec_b64 s[54:55], vcc
	s_xor_b64 vcc, exec, s[54:55]
; %bb.483:                              ;   in Loop: Header=BB8_442 Depth=2
	v_bfe_u32 v5, v4, 16, 1
	v_add3_u32 v53, v4, v5, s71
                                        ; implicit-def: $vgpr4_vgpr5
; %bb.484:                              ;   in Loop: Header=BB8_442 Depth=2
	s_andn2_saveexec_b64 s[54:55], vcc
; %bb.485:                              ;   in Loop: Header=BB8_442 Depth=2
	v_or_b32_e32 v5, 0x10000, v4
	v_cmp_eq_u32_sdwa vcc, v4, v55 src0_sel:WORD_0 src1_sel:DWORD
	s_nop 1
	v_cndmask_b32_e32 v53, v5, v4, vcc
; %bb.486:                              ;   in Loop: Header=BB8_442 Depth=2
	s_or_b64 exec, exec, s[54:55]
	v_lshlrev_b32_e32 v4, 16, v51
	v_lshlrev_b32_e32 v6, 16, v50
	v_pk_mul_f32 v[4:5], v[4:5], v[6:7] op_sel_hi:[0,1]
	v_and_b32_e32 v5, 0x7f800000, v4
	v_cmp_ne_u32_e32 vcc, s70, v5
                                        ; implicit-def: $vgpr6
	s_and_saveexec_b64 s[54:55], vcc
	s_xor_b64 vcc, exec, s[54:55]
; %bb.487:                              ;   in Loop: Header=BB8_442 Depth=2
	v_bfe_u32 v5, v4, 16, 1
	v_add3_u32 v6, v4, v5, s71
                                        ; implicit-def: $vgpr4_vgpr5
; %bb.488:                              ;   in Loop: Header=BB8_442 Depth=2
	s_andn2_saveexec_b64 s[54:55], vcc
; %bb.489:                              ;   in Loop: Header=BB8_442 Depth=2
	v_or_b32_e32 v5, 0x10000, v4
	v_cmp_eq_u32_sdwa vcc, v4, v55 src0_sel:WORD_0 src1_sel:DWORD
	s_nop 1
	v_cndmask_b32_e32 v6, v5, v4, vcc
; %bb.490:                              ;   in Loop: Header=BB8_442 Depth=2
	s_or_b64 exec, exec, s[54:55]
	v_lshlrev_b32_e32 v4, 16, v49
	v_lshlrev_b32_e32 v8, 16, v39
	v_pk_mul_f32 v[4:5], v[4:5], v[8:9] op_sel_hi:[0,1]
	v_and_b32_e32 v5, 0x7f800000, v4
	v_cmp_ne_u32_e32 vcc, s70, v5
                                        ; implicit-def: $vgpr7
	s_and_saveexec_b64 s[54:55], vcc
	s_xor_b64 vcc, exec, s[54:55]
; %bb.491:                              ;   in Loop: Header=BB8_442 Depth=2
	v_bfe_u32 v5, v4, 16, 1
	v_add3_u32 v7, v4, v5, s71
                                        ; implicit-def: $vgpr4_vgpr5
; %bb.492:                              ;   in Loop: Header=BB8_442 Depth=2
	s_andn2_saveexec_b64 s[54:55], vcc
; %bb.493:                              ;   in Loop: Header=BB8_442 Depth=2
	v_or_b32_e32 v5, 0x10000, v4
	v_cmp_eq_u32_sdwa vcc, v4, v55 src0_sel:WORD_0 src1_sel:DWORD
	s_nop 1
	v_cndmask_b32_e32 v7, v5, v4, vcc
; %bb.494:                              ;   in Loop: Header=BB8_442 Depth=2
	s_or_b64 exec, exec, s[54:55]
	v_lshlrev_b32_e32 v4, 16, v38
	v_lshlrev_b32_e32 v8, 16, v36
	v_pk_mul_f32 v[4:5], v[4:5], v[8:9] op_sel_hi:[0,1]
	v_and_b32_e32 v5, 0x7f800000, v4
	v_cmp_ne_u32_e32 vcc, s70, v5
                                        ; implicit-def: $vgpr8
	s_and_saveexec_b64 s[54:55], vcc
	s_xor_b64 vcc, exec, s[54:55]
; %bb.495:                              ;   in Loop: Header=BB8_442 Depth=2
	v_bfe_u32 v5, v4, 16, 1
	v_add3_u32 v8, v4, v5, s71
                                        ; implicit-def: $vgpr4_vgpr5
; %bb.496:                              ;   in Loop: Header=BB8_442 Depth=2
	s_andn2_saveexec_b64 s[54:55], vcc
; %bb.497:                              ;   in Loop: Header=BB8_442 Depth=2
	v_or_b32_e32 v5, 0x10000, v4
	v_cmp_eq_u32_sdwa vcc, v4, v55 src0_sel:WORD_0 src1_sel:DWORD
	s_nop 1
	v_cndmask_b32_e32 v8, v5, v4, vcc
; %bb.498:                              ;   in Loop: Header=BB8_442 Depth=2
	s_or_b64 exec, exec, s[54:55]
	v_lshlrev_b32_e32 v4, 16, v35
	v_lshlrev_b32_e32 v36, 16, v33
	v_pk_mul_f32 v[4:5], v[4:5], v[36:37] op_sel_hi:[0,1]
	v_and_b32_e32 v5, 0x7f800000, v4
	v_cmp_ne_u32_e32 vcc, s70, v5
                                        ; implicit-def: $vgpr9
	s_and_saveexec_b64 s[54:55], vcc
	s_xor_b64 vcc, exec, s[54:55]
; %bb.499:                              ;   in Loop: Header=BB8_442 Depth=2
	v_bfe_u32 v5, v4, 16, 1
	v_add3_u32 v9, v4, v5, s71
                                        ; implicit-def: $vgpr4_vgpr5
; %bb.500:                              ;   in Loop: Header=BB8_442 Depth=2
	s_andn2_saveexec_b64 s[54:55], vcc
; %bb.501:                              ;   in Loop: Header=BB8_442 Depth=2
	v_or_b32_e32 v5, 0x10000, v4
	v_cmp_eq_u32_sdwa vcc, v4, v55 src0_sel:WORD_0 src1_sel:DWORD
	s_nop 1
	v_cndmask_b32_e32 v9, v5, v4, vcc
; %bb.502:                              ;   in Loop: Header=BB8_442 Depth=2
	s_or_b64 exec, exec, s[54:55]
	v_lshlrev_b32_e32 v4, 16, v32
	v_lshlrev_b32_e32 v30, 16, v30
	v_pk_mul_f32 v[4:5], v[4:5], v[30:31] op_sel_hi:[0,1]
	v_and_b32_e32 v5, 0x7f800000, v4
	v_cmp_ne_u32_e32 vcc, s70, v5
                                        ; implicit-def: $vgpr30
	s_and_saveexec_b64 s[54:55], vcc
	s_xor_b64 vcc, exec, s[54:55]
; %bb.503:                              ;   in Loop: Header=BB8_442 Depth=2
	v_bfe_u32 v5, v4, 16, 1
	v_add3_u32 v30, v4, v5, s71
                                        ; implicit-def: $vgpr4_vgpr5
; %bb.504:                              ;   in Loop: Header=BB8_442 Depth=2
	s_andn2_saveexec_b64 s[54:55], vcc
; %bb.505:                              ;   in Loop: Header=BB8_442 Depth=2
	v_or_b32_e32 v5, 0x10000, v4
	v_cmp_eq_u32_sdwa vcc, v4, v55 src0_sel:WORD_0 src1_sel:DWORD
	s_nop 1
	v_cndmask_b32_e32 v30, v5, v4, vcc
; %bb.506:                              ;   in Loop: Header=BB8_442 Depth=2
	s_or_b64 exec, exec, s[54:55]
	v_lshlrev_b32_e32 v4, 16, v29
	v_lshlrev_b32_e32 v32, 16, v27
	v_pk_mul_f32 v[4:5], v[4:5], v[32:33] op_sel_hi:[0,1]
	v_and_b32_e32 v5, 0x7f800000, v4
	v_cmp_ne_u32_e32 vcc, s70, v5
                                        ; implicit-def: $vgpr27
	s_and_saveexec_b64 s[54:55], vcc
	s_xor_b64 vcc, exec, s[54:55]
; %bb.507:                              ;   in Loop: Header=BB8_442 Depth=2
	v_bfe_u32 v5, v4, 16, 1
	v_add3_u32 v27, v4, v5, s71
                                        ; implicit-def: $vgpr4_vgpr5
; %bb.508:                              ;   in Loop: Header=BB8_442 Depth=2
	s_andn2_saveexec_b64 s[54:55], vcc
	s_cbranch_execz .LBB8_441
; %bb.509:                              ;   in Loop: Header=BB8_442 Depth=2
	v_or_b32_e32 v5, 0x10000, v4
	v_cmp_eq_u32_sdwa vcc, v4, v55 src0_sel:WORD_0 src1_sel:DWORD
	s_nop 1
	v_cndmask_b32_e32 v27, v5, v4, vcc
	s_branch .LBB8_441
.LBB8_510:                              ;   in Loop: Header=BB8_49 Depth=1
	s_or_b64 exec, exec, s[50:51]
	v_lshlrev_b32_e32 v32, 16, v48
	v_lshlrev_b32_e32 v33, 16, v16
	;; [unrolled: 1-line block ×16, first 2 shown]
	s_and_b64 s[20:21], s[20:21], exec
	v_mov_b32_e32 v20, v40
.LBB8_511:                              ;   in Loop: Header=BB8_49 Depth=1
	s_or_b64 exec, exec, s[18:19]
	s_and_saveexec_b64 s[18:19], s[20:21]
	s_cbranch_execz .LBB8_545
; %bb.512:                              ;   in Loop: Header=BB8_49 Depth=1
	v_mul_f32_e32 v5, v33, v32
	v_and_b32_e32 v4, 0x7f800000, v5
	v_cmp_ne_u32_e32 vcc, s70, v4
                                        ; implicit-def: $vgpr4
	s_and_saveexec_b64 s[20:21], vcc
	s_xor_b64 s[20:21], exec, s[20:21]
; %bb.513:                              ;   in Loop: Header=BB8_49 Depth=1
	v_bfe_u32 v4, v5, 16, 1
	v_add3_u32 v4, v5, v4, s71
                                        ; implicit-def: $vgpr5
; %bb.514:                              ;   in Loop: Header=BB8_49 Depth=1
	s_andn2_saveexec_b64 s[20:21], s[20:21]
; %bb.515:                              ;   in Loop: Header=BB8_49 Depth=1
	v_or_b32_e32 v4, 0x10000, v5
	v_cmp_eq_u32_sdwa vcc, v5, v55 src0_sel:WORD_0 src1_sel:DWORD
	s_nop 1
	v_cndmask_b32_e32 v4, v4, v5, vcc
; %bb.516:                              ;   in Loop: Header=BB8_49 Depth=1
	s_or_b64 exec, exec, s[20:21]
	v_mul_f32_e32 v19, v30, v29
	v_and_b32_e32 v5, 0x7f800000, v19
	v_cmp_ne_u32_e32 vcc, s70, v5
                                        ; implicit-def: $vgpr5
	s_and_saveexec_b64 s[20:21], vcc
	s_xor_b64 s[20:21], exec, s[20:21]
; %bb.517:                              ;   in Loop: Header=BB8_49 Depth=1
	v_bfe_u32 v5, v19, 16, 1
	v_add3_u32 v5, v19, v5, s71
                                        ; implicit-def: $vgpr19
; %bb.518:                              ;   in Loop: Header=BB8_49 Depth=1
	s_andn2_saveexec_b64 s[20:21], s[20:21]
; %bb.519:                              ;   in Loop: Header=BB8_49 Depth=1
	v_or_b32_e32 v5, 0x10000, v19
	v_cmp_eq_u32_sdwa vcc, v19, v55 src0_sel:WORD_0 src1_sel:DWORD
	s_nop 1
	v_cndmask_b32_e32 v5, v5, v19, vcc
; %bb.520:                              ;   in Loop: Header=BB8_49 Depth=1
	s_or_b64 exec, exec, s[20:21]
	v_mul_f32_e32 v19, v27, v8
	v_and_b32_e32 v8, 0x7f800000, v19
	v_cmp_ne_u32_e32 vcc, s70, v8
                                        ; implicit-def: $vgpr8
	s_and_saveexec_b64 s[20:21], vcc
	s_xor_b64 s[20:21], exec, s[20:21]
; %bb.521:                              ;   in Loop: Header=BB8_49 Depth=1
	v_bfe_u32 v8, v19, 16, 1
	v_add3_u32 v8, v19, v8, s71
                                        ; implicit-def: $vgpr19
; %bb.522:                              ;   in Loop: Header=BB8_49 Depth=1
	s_andn2_saveexec_b64 s[20:21], s[20:21]
; %bb.523:                              ;   in Loop: Header=BB8_49 Depth=1
	v_or_b32_e32 v8, 0x10000, v19
	v_cmp_eq_u32_sdwa vcc, v19, v55 src0_sel:WORD_0 src1_sel:DWORD
	s_nop 1
	v_cndmask_b32_e32 v8, v8, v19, vcc
; %bb.524:                              ;   in Loop: Header=BB8_49 Depth=1
	s_or_b64 exec, exec, s[20:21]
	v_mul_f32_e32 v18, v18, v9
	v_and_b32_e32 v9, 0x7f800000, v18
	v_cmp_ne_u32_e32 vcc, s70, v9
                                        ; implicit-def: $vgpr9
	s_and_saveexec_b64 s[20:21], vcc
	s_xor_b64 s[20:21], exec, s[20:21]
; %bb.525:                              ;   in Loop: Header=BB8_49 Depth=1
	v_bfe_u32 v9, v18, 16, 1
	v_add3_u32 v9, v18, v9, s71
                                        ; implicit-def: $vgpr18
; %bb.526:                              ;   in Loop: Header=BB8_49 Depth=1
	s_andn2_saveexec_b64 s[20:21], s[20:21]
; %bb.527:                              ;   in Loop: Header=BB8_49 Depth=1
	v_or_b32_e32 v9, 0x10000, v18
	v_cmp_eq_u32_sdwa vcc, v18, v55 src0_sel:WORD_0 src1_sel:DWORD
	s_nop 1
	v_cndmask_b32_e32 v9, v9, v18, vcc
; %bb.528:                              ;   in Loop: Header=BB8_49 Depth=1
	s_or_b64 exec, exec, s[20:21]
	v_mul_f32_e32 v7, v7, v6
	v_and_b32_e32 v6, 0x7f800000, v7
	v_cmp_ne_u32_e32 vcc, s70, v6
                                        ; implicit-def: $vgpr6
	s_and_saveexec_b64 s[20:21], vcc
	s_xor_b64 s[20:21], exec, s[20:21]
; %bb.529:                              ;   in Loop: Header=BB8_49 Depth=1
	v_bfe_u32 v6, v7, 16, 1
	v_add3_u32 v6, v7, v6, s71
                                        ; implicit-def: $vgpr7
; %bb.530:                              ;   in Loop: Header=BB8_49 Depth=1
	s_andn2_saveexec_b64 s[20:21], s[20:21]
; %bb.531:                              ;   in Loop: Header=BB8_49 Depth=1
	v_or_b32_e32 v6, 0x10000, v7
	v_cmp_eq_u32_sdwa vcc, v7, v55 src0_sel:WORD_0 src1_sel:DWORD
	s_nop 1
	v_cndmask_b32_e32 v6, v6, v7, vcc
; %bb.532:                              ;   in Loop: Header=BB8_49 Depth=1
	s_or_b64 exec, exec, s[20:21]
	v_mul_f32_e32 v16, v17, v16
	v_and_b32_e32 v7, 0x7f800000, v16
	v_cmp_ne_u32_e32 vcc, s70, v7
                                        ; implicit-def: $vgpr7
	s_and_saveexec_b64 s[20:21], vcc
	s_xor_b64 s[20:21], exec, s[20:21]
; %bb.533:                              ;   in Loop: Header=BB8_49 Depth=1
	v_bfe_u32 v7, v16, 16, 1
	v_add3_u32 v7, v16, v7, s71
                                        ; implicit-def: $vgpr16
; %bb.534:                              ;   in Loop: Header=BB8_49 Depth=1
	s_andn2_saveexec_b64 s[20:21], s[20:21]
; %bb.535:                              ;   in Loop: Header=BB8_49 Depth=1
	v_or_b32_e32 v7, 0x10000, v16
	v_cmp_eq_u32_sdwa vcc, v16, v55 src0_sel:WORD_0 src1_sel:DWORD
	s_nop 1
	v_cndmask_b32_e32 v7, v7, v16, vcc
; %bb.536:                              ;   in Loop: Header=BB8_49 Depth=1
	s_or_b64 exec, exec, s[20:21]
	v_mul_f32_e32 v11, v11, v10
	v_and_b32_e32 v10, 0x7f800000, v11
	v_cmp_ne_u32_e32 vcc, s70, v10
                                        ; implicit-def: $vgpr10
	s_and_saveexec_b64 s[20:21], vcc
	s_xor_b64 s[20:21], exec, s[20:21]
; %bb.537:                              ;   in Loop: Header=BB8_49 Depth=1
	v_bfe_u32 v10, v11, 16, 1
	v_add3_u32 v10, v11, v10, s71
                                        ; implicit-def: $vgpr11
; %bb.538:                              ;   in Loop: Header=BB8_49 Depth=1
	s_andn2_saveexec_b64 s[20:21], s[20:21]
; %bb.539:                              ;   in Loop: Header=BB8_49 Depth=1
	v_or_b32_e32 v10, 0x10000, v11
	v_cmp_eq_u32_sdwa vcc, v11, v55 src0_sel:WORD_0 src1_sel:DWORD
	s_nop 1
	v_cndmask_b32_e32 v10, v10, v11, vcc
; %bb.540:                              ;   in Loop: Header=BB8_49 Depth=1
	s_or_b64 exec, exec, s[20:21]
	v_mul_f32_e32 v3, v3, v2
	v_and_b32_e32 v2, 0x7f800000, v3
	v_cmp_ne_u32_e32 vcc, s70, v2
                                        ; implicit-def: $vgpr2
	s_and_saveexec_b64 s[20:21], vcc
	s_xor_b64 s[20:21], exec, s[20:21]
; %bb.541:                              ;   in Loop: Header=BB8_49 Depth=1
	v_bfe_u32 v2, v3, 16, 1
	v_add3_u32 v2, v3, v2, s71
                                        ; implicit-def: $vgpr3
; %bb.542:                              ;   in Loop: Header=BB8_49 Depth=1
	s_andn2_saveexec_b64 s[20:21], s[20:21]
; %bb.543:                              ;   in Loop: Header=BB8_49 Depth=1
	v_or_b32_e32 v2, 0x10000, v3
	v_cmp_eq_u32_sdwa vcc, v3, v55 src0_sel:WORD_0 src1_sel:DWORD
	s_nop 1
	v_cndmask_b32_e32 v2, v2, v3, vcc
; %bb.544:                              ;   in Loop: Header=BB8_49 Depth=1
	s_or_b64 exec, exec, s[20:21]
	flat_store_short_d16_hi v[0:1], v4 nt
	flat_store_short_d16_hi v[0:1], v5 offset:128 nt
	flat_store_short_d16_hi v[0:1], v8 offset:256 nt
	;; [unrolled: 1-line block ×7, first 2 shown]
.LBB8_545:                              ;   in Loop: Header=BB8_49 Depth=1
	s_or_b64 exec, exec, s[18:19]
	v_lshlrev_b32_e32 v0, 10, v14
	v_cmp_ne_u32_e32 vcc, v60, v0
	s_and_b64 s[18:19], exec, vcc
	v_accvgpr_read_b32 v29, a0
	v_accvgpr_read_b32 v31, a1
	;; [unrolled: 1-line block ×3, first 2 shown]
	s_mov_b64 exec, s[18:19]
	s_cbranch_execz .LBB8_571
; %bb.546:                              ;   in Loop: Header=BB8_49 Depth=1
	v_lshlrev_b32_e32 v1, 6, v15
	v_sub_u32_e32 v1, v13, v1
	v_ashrrev_i32_e32 v2, 31, v1
	v_lshrrev_b32_e32 v2, 26, v2
	v_add_u32_e32 v2, v1, v2
	v_and_b32_e32 v3, 0x7fffffc0, v2
	v_sub_u32_e32 v1, v1, v3
	v_lshlrev_b32_e32 v2, 1, v2
	v_and_b32_e32 v2, 0xffffff80, v2
	v_lshlrev_b32_e32 v1, 1, v1
	v_add3_u32 v0, v2, v1, v0
	v_add_u32_e32 v2, v0, v12
	v_sub_u32_e32 v6, v60, v0
	v_accvgpr_read_b32 v0, a48
	v_ashrrev_i32_e32 v3, 31, v2
	v_accvgpr_read_b32 v1, a49
	v_lshl_add_u64 v[0:1], v[2:3], 0, v[0:1]
	v_cmp_lt_i32_e32 vcc, 1, v6
	s_mov_b64 s[18:19], 0
	s_and_saveexec_b64 s[50:51], vcc
	s_cbranch_execz .LBB8_565
; %bb.547:                              ;   in Loop: Header=BB8_49 Depth=1
	s_trap 2
	ds_read_b128 v[8:11], v0
	s_mov_b64 s[56:57], 0
	s_mov_b64 s[52:53], 0
	v_accvgpr_read_b32 v14, a38
	v_mov_b32_e32 v15, 0x80
	s_waitcnt lgkmcnt(0)
	v_lshl_add_u64 v[4:5], v[8:9], 0, v[2:3]
	v_lshl_add_u64 v[2:3], v[10:11], 0, v[2:3]
                                        ; implicit-def: $sgpr54_sgpr55
	s_branch .LBB8_549
.LBB8_548:                              ;   in Loop: Header=BB8_549 Depth=2
	s_or_b64 exec, exec, s[18:19]
	v_lshrrev_b32_e32 v7, 16, v7
	scratch_store_short off, v7, s33 offset:144
	flat_store_short v[0:1], v7 nt
	v_cndmask_b32_e64 v7, 0, v14, s[56:57]
	v_sub_u32_e32 v6, v6, v7
	v_accvgpr_read_b32 v10, a40
	v_accvgpr_read_b32 v12, a42
	v_cmp_gt_i32_e32 vcc, 2, v6
	v_accvgpr_read_b32 v11, a41
	v_accvgpr_read_b32 v13, a43
	s_or_b64 s[52:53], vcc, s[52:53]
	v_lshl_add_u64 v[8:9], v[4:5], 0, v[10:11]
	v_lshl_add_u64 v[10:11], v[2:3], 0, v[10:11]
	v_cndmask_b32_e64 v13, 0, v13, s[56:57]
	v_cndmask_b32_e64 v12, v15, v12, s[56:57]
	s_andn2_b64 s[18:19], s[54:55], exec
	s_and_b64 s[20:21], s[56:57], exec
	v_lshl_add_u64 v[0:1], v[0:1], 0, v[12:13]
	v_cndmask_b32_e64 v3, v3, v11, s[56:57]
	v_cndmask_b32_e64 v2, v2, v10, s[56:57]
	;; [unrolled: 1-line block ×4, first 2 shown]
	s_or_b64 s[54:55], s[18:19], s[20:21]
	s_andn2_b64 exec, exec, s[52:53]
	s_cbranch_execz .LBB8_564
.LBB8_549:                              ;   Parent Loop BB8_49 Depth=1
                                        ; =>  This Loop Header: Depth=2
                                        ;       Child Loop BB8_550 Depth 3
                                        ;       Child Loop BB8_559 Depth 3
	s_add_i32 s18, s33, 0x90
	v_mov_b32_e32 v7, s18
	s_mov_b64 s[58:59], -1
	s_mov_b64 s[60:61], 0
.LBB8_550:                              ;   Parent Loop BB8_49 Depth=1
                                        ;     Parent Loop BB8_549 Depth=2
                                        ; =>    This Inner Loop Header: Depth=3
	s_cmp_eq_u32 s60, 1
	s_cselect_b64 vcc, -1, 0
	v_cndmask_b32_e32 v9, v5, v3, vcc
	v_cndmask_b32_e32 v8, v4, v2, vcc
	flat_load_ushort v10, v[8:9] nt
	s_cmp_eq_u32 s60, 0
	v_lshl_add_u64 v[8:9], v[8:9], 0, s[42:43]
	s_cselect_b64 s[18:19], -1, 0
	s_and_b64 s[20:21], exec, s[58:59]
	v_cndmask_b32_e64 v5, v5, v9, s[18:19]
	v_cndmask_b32_e64 v4, v4, v8, s[18:19]
	s_add_i32 s18, s33, 0xb0
	s_mov_b64 s[60:61], 1
	s_mov_b64 s[58:59], 0
	v_cndmask_b32_e32 v3, v3, v9, vcc
	v_cndmask_b32_e32 v2, v2, v8, vcc
	s_mov_b64 vcc, s[20:21]
	s_waitcnt vmcnt(0) lgkmcnt(0)
	scratch_store_short v7, v10, off
	v_mov_b32_e32 v7, s18
	s_cbranch_vccnz .LBB8_550
; %bb.551:                              ;   in Loop: Header=BB8_549 Depth=2
	s_and_saveexec_b64 s[18:19], s[56:57]
	s_cbranch_execz .LBB8_557
; %bb.552:                              ;   in Loop: Header=BB8_549 Depth=2
	scratch_load_ushort v7, off, s33 offset:134
	scratch_load_ushort v9, off, s33 offset:132
	s_waitcnt vmcnt(1)
	v_lshlrev_b32_e32 v8, 16, v7
	s_waitcnt vmcnt(0)
	v_lshlrev_b32_e32 v10, 16, v9
	v_pk_mul_f32 v[10:11], v[8:9], v[10:11] op_sel_hi:[0,1]
	v_and_b32_e32 v7, 0x7f800000, v10
	v_cmp_ne_u32_e32 vcc, s70, v7
                                        ; implicit-def: $vgpr7
	s_and_saveexec_b64 s[20:21], vcc
	s_xor_b64 s[20:21], exec, s[20:21]
; %bb.553:                              ;   in Loop: Header=BB8_549 Depth=2
	v_bfe_u32 v7, v10, 16, 1
	v_add3_u32 v7, v10, v7, s71
                                        ; implicit-def: $vgpr10_vgpr11
; %bb.554:                              ;   in Loop: Header=BB8_549 Depth=2
	s_andn2_saveexec_b64 s[20:21], s[20:21]
; %bb.555:                              ;   in Loop: Header=BB8_549 Depth=2
	v_or_b32_e32 v7, 0x10000, v10
	v_cmp_eq_u32_sdwa vcc, v10, v55 src0_sel:WORD_0 src1_sel:DWORD
	s_nop 1
	v_cndmask_b32_e32 v7, v7, v10, vcc
; %bb.556:                              ;   in Loop: Header=BB8_549 Depth=2
	s_or_b64 exec, exec, s[20:21]
	v_accvgpr_read_b32 v8, a42
	v_lshrrev_b32_e32 v7, 16, v7
	v_accvgpr_read_b32 v9, a43
	scratch_store_short off, v7, s33 offset:132
	flat_store_short v[0:1], v7 nt
	v_lshl_add_u64 v[0:1], v[0:1], 0, v[8:9]
.LBB8_557:                              ;   in Loop: Header=BB8_549 Depth=2
	s_or_b64 exec, exec, s[18:19]
	v_accvgpr_read_b32 v8, a40
	v_accvgpr_read_b32 v9, a41
	v_sub_u32_e32 v6, v6, v14
	v_lshl_add_u64 v[4:5], v[4:5], 0, v[8:9]
	v_lshl_add_u64 v[2:3], v[2:3], 0, v[8:9]
	v_cmp_lt_i32_e64 s[56:57], 1, v6
	s_and_saveexec_b64 s[58:59], s[56:57]
	s_cbranch_execz .LBB8_560
; %bb.558:                              ;   in Loop: Header=BB8_549 Depth=2
	s_add_i32 s18, s33, 0x84
	v_mov_b32_e32 v7, s18
	s_mov_b64 s[62:63], 0
	s_mov_b64 s[60:61], -1
.LBB8_559:                              ;   Parent Loop BB8_49 Depth=1
                                        ;     Parent Loop BB8_549 Depth=2
                                        ; =>    This Inner Loop Header: Depth=3
	s_cmp_eq_u32 s62, 1
	s_cselect_b64 vcc, -1, 0
	v_cndmask_b32_e32 v9, v5, v3, vcc
	v_cndmask_b32_e32 v8, v4, v2, vcc
	flat_load_ushort v10, v[8:9] nt
	s_cmp_eq_u32 s62, 0
	v_lshl_add_u64 v[8:9], v[8:9], 0, s[42:43]
	s_cselect_b64 s[18:19], -1, 0
	s_and_b64 s[20:21], exec, s[60:61]
	v_cndmask_b32_e64 v5, v5, v9, s[18:19]
	v_cndmask_b32_e64 v4, v4, v8, s[18:19]
	s_add_i32 s18, s33, 0x86
	s_mov_b64 s[62:63], 1
	s_mov_b64 s[60:61], 0
	v_cndmask_b32_e32 v3, v3, v9, vcc
	v_cndmask_b32_e32 v2, v2, v8, vcc
	s_mov_b64 vcc, s[20:21]
	s_waitcnt vmcnt(0) lgkmcnt(0)
	scratch_store_short v7, v10, off
	v_mov_b32_e32 v7, s18
	s_cbranch_vccnz .LBB8_559
.LBB8_560:                              ;   in Loop: Header=BB8_549 Depth=2
	s_or_b64 exec, exec, s[58:59]
	scratch_load_ushort v7, off, s33 offset:176
	scratch_load_ushort v9, off, s33 offset:144
	s_waitcnt vmcnt(0)
	v_lshlrev_b32_e32 v8, 16, v7
	v_lshlrev_b32_e32 v10, 16, v9
	v_pk_mul_f32 v[10:11], v[8:9], v[10:11] op_sel_hi:[0,1]
	v_and_b32_e32 v7, 0x7f800000, v10
	v_cmp_ne_u32_e32 vcc, s70, v7
                                        ; implicit-def: $vgpr7
	s_and_saveexec_b64 s[18:19], vcc
	s_xor_b64 s[18:19], exec, s[18:19]
; %bb.561:                              ;   in Loop: Header=BB8_549 Depth=2
	v_bfe_u32 v7, v10, 16, 1
	v_add3_u32 v7, v10, v7, s71
                                        ; implicit-def: $vgpr10_vgpr11
; %bb.562:                              ;   in Loop: Header=BB8_549 Depth=2
	s_andn2_saveexec_b64 s[18:19], s[18:19]
	s_cbranch_execz .LBB8_548
; %bb.563:                              ;   in Loop: Header=BB8_549 Depth=2
	v_or_b32_e32 v7, 0x10000, v10
	v_cmp_eq_u32_sdwa vcc, v10, v55 src0_sel:WORD_0 src1_sel:DWORD
	s_nop 1
	v_cndmask_b32_e32 v7, v7, v10, vcc
	s_branch .LBB8_548
.LBB8_564:                              ;   in Loop: Header=BB8_49 Depth=1
	s_or_b64 exec, exec, s[52:53]
	s_and_b64 s[18:19], s[54:55], exec
.LBB8_565:                              ;   in Loop: Header=BB8_49 Depth=1
	s_or_b64 exec, exec, s[50:51]
	s_and_b64 exec, exec, s[18:19]
	s_cbranch_execz .LBB8_571
; %bb.566:                              ;   in Loop: Header=BB8_49 Depth=1
	scratch_load_ushort v2, off, s33 offset:134
	scratch_load_ushort v3, off, s33 offset:132
	s_waitcnt vmcnt(0)
	v_lshlrev_b32_e32 v2, 16, v2
	v_lshlrev_b32_e32 v4, 16, v3
	v_pk_mul_f32 v[2:3], v[2:3], v[4:5] op_sel_hi:[0,1]
	v_and_b32_e32 v3, 0x7f800000, v2
	v_cmp_ne_u32_e32 vcc, s70, v3
                                        ; implicit-def: $vgpr4
	s_and_saveexec_b64 s[18:19], vcc
	s_xor_b64 s[18:19], exec, s[18:19]
; %bb.567:                              ;   in Loop: Header=BB8_49 Depth=1
	v_bfe_u32 v3, v2, 16, 1
	v_add3_u32 v4, v2, v3, s71
                                        ; implicit-def: $vgpr2_vgpr3
; %bb.568:                              ;   in Loop: Header=BB8_49 Depth=1
	s_andn2_saveexec_b64 s[18:19], s[18:19]
; %bb.569:                              ;   in Loop: Header=BB8_49 Depth=1
	v_or_b32_e32 v3, 0x10000, v2
	v_cmp_eq_u32_sdwa vcc, v2, v55 src0_sel:WORD_0 src1_sel:DWORD
	s_nop 1
	v_cndmask_b32_e32 v4, v3, v2, vcc
; %bb.570:                              ;   in Loop: Header=BB8_49 Depth=1
	s_or_b64 exec, exec, s[18:19]
	flat_store_short_d16_hi v[0:1], v4 nt
.LBB8_571:                              ;   in Loop: Header=BB8_49 Depth=1
	s_or_b64 exec, exec, s[22:23]
	v_accvgpr_read_b32 v0, a45
	v_cmp_ne_u32_e64 s[18:19], 0, v0
	v_mov_b32_e32 v12, 1
	v_accvgpr_read_b32 v14, a44
.LBB8_572:                              ;   in Loop: Header=BB8_49 Depth=1
	s_and_saveexec_b64 s[20:21], s[6:7]
	s_cbranch_execz .LBB8_591
; %bb.573:                              ;   in Loop: Header=BB8_49 Depth=1
	s_and_saveexec_b64 s[22:23], s[34:35]
	s_xor_b64 s[22:23], exec, s[22:23]
	s_cbranch_execz .LBB8_588
; %bb.574:                              ;   in Loop: Header=BB8_49 Depth=1
	s_and_saveexec_b64 s[50:51], s[10:11]
	s_cbranch_execz .LBB8_587
; %bb.575:                              ;   in Loop: Header=BB8_49 Depth=1
	s_mov_b64 s[54:55], exec
	v_mbcnt_lo_u32_b32 v0, s54, 0
	v_mbcnt_hi_u32_b32 v0, s55, v0
	v_cmp_eq_u32_e32 vcc, 0, v0
	s_waitcnt lgkmcnt(0)
	s_and_saveexec_b64 s[52:53], vcc
	s_cbranch_execz .LBB8_577
; %bb.576:                              ;   in Loop: Header=BB8_49 Depth=1
	s_bcnt1_i32_b64 vcc_lo, s[54:55]
	v_mov_b32_e32 v54, vcc_lo
	ds_add_u64 v0, v[54:55]
	s_trap 2
.LBB8_577:                              ;   in Loop: Header=BB8_49 Depth=1
	s_or_b64 exec, exec, s[52:53]
	s_trap 2
	ds_read_b64 v[0:1], v0
	v_accvgpr_read_b32 v2, a20
	v_accvgpr_read_b32 v4, a26
	;; [unrolled: 1-line block ×4, first 2 shown]
	v_lshl_add_u64 v[2:3], v[2:3], 0, v[4:5]
	v_accvgpr_write_b32 a21, v3
	v_accvgpr_write_b32 a20, v2
	s_waitcnt lgkmcnt(0)
	v_cmp_lt_u64_e32 vcc, v[0:1], v[2:3]
	s_and_saveexec_b64 s[52:53], vcc
	s_cbranch_execz .LBB8_586
; %bb.578:                              ;   in Loop: Header=BB8_49 Depth=1
	s_mov_b32 s64, 0
	s_mov_b64 s[54:55], 0
                                        ; implicit-def: $sgpr56_sgpr57
                                        ; implicit-def: $sgpr58_sgpr59
	s_branch .LBB8_580
.LBB8_579:                              ;   in Loop: Header=BB8_580 Depth=2
	s_or_b64 exec, exec, s[62:63]
	s_and_b64 vcc, exec, vcc
	s_or_b64 s[54:55], vcc, s[54:55]
	s_andn2_b64 vcc, s[56:57], exec
	s_and_b64 s[56:57], s[58:59], exec
	s_or_b64 s[56:57], vcc, s[56:57]
	s_andn2_b64 exec, exec, s[54:55]
	s_cbranch_execz .LBB8_584
.LBB8_580:                              ;   Parent Loop BB8_49 Depth=1
                                        ; =>  This Inner Loop Header: Depth=2
	s_add_i32 s64, s64, 1
	s_cmpk_lg_i32 s64, 0x2710
	s_cselect_b64 s[60:61], -1, 0
	s_and_b64 vcc, exec, s[60:61]
                                        ; implicit-def: $sgpr62_sgpr63
	s_cbranch_vccnz .LBB8_582
; %bb.581:                              ;   in Loop: Header=BB8_580 Depth=2
	s_trap 2
	ds_read_b64 v[0:1], v0
	s_andn2_b64 s[60:61], s[60:61], exec
	s_mov_b32 s64, 0
	s_mov_b64 s[62:63], -1
	s_waitcnt vmcnt(0) lgkmcnt(0)
	flat_load_dword v0, v[0:1] sc0 sc1
	s_waitcnt vmcnt(0) lgkmcnt(0)
	buffer_inv sc0 sc1
	v_cmp_eq_u32_e32 vcc, 0, v0
	s_and_b64 vcc, vcc, exec
	s_or_b64 s[60:61], s[60:61], vcc
.LBB8_582:                              ;   in Loop: Header=BB8_580 Depth=2
	s_andn2_b64 s[58:59], s[58:59], exec
	s_and_b64 s[62:63], s[62:63], exec
	s_mov_b64 vcc, -1
	s_or_b64 s[58:59], s[58:59], s[62:63]
	s_and_saveexec_b64 s[62:63], s[60:61]
	s_cbranch_execz .LBB8_579
; %bb.583:                              ;   in Loop: Header=BB8_580 Depth=2
	s_sleep 1
	s_trap 2
	ds_read_b64 v[0:1], v0
	v_accvgpr_read_b32 v2, a20
	v_accvgpr_read_b32 v3, a21
	s_andn2_b64 s[58:59], s[58:59], exec
	s_waitcnt lgkmcnt(0)
	v_cmp_ge_u64_e32 vcc, v[0:1], v[2:3]
	s_orn2_b64 vcc, vcc, exec
	s_branch .LBB8_579
.LBB8_584:                              ;   in Loop: Header=BB8_49 Depth=1
	s_or_b64 exec, exec, s[54:55]
	s_and_saveexec_b64 vcc, s[56:57]
	s_xor_b64 vcc, exec, vcc
	s_cbranch_execz .LBB8_586
; %bb.585:                              ;   in Loop: Header=BB8_49 Depth=1
	ds_write_b32 v0, v12
	s_trap 2
.LBB8_586:                              ;   in Loop: Header=BB8_49 Depth=1
	s_or_b64 exec, exec, s[52:53]
	;;#ASMSTART
	s_wakeup
	;;#ASMEND
.LBB8_587:                              ;   in Loop: Header=BB8_49 Depth=1
	s_or_b64 exec, exec, s[50:51]
.LBB8_588:                              ;   in Loop: Header=BB8_49 Depth=1
	s_andn2_saveexec_b64 s[22:23], s[22:23]
	s_cbranch_execz .LBB8_590
; %bb.589:                              ;   in Loop: Header=BB8_49 Depth=1
	s_waitcnt lgkmcnt(0)
	s_barrier
.LBB8_590:                              ;   in Loop: Header=BB8_49 Depth=1
	s_or_b64 exec, exec, s[22:23]
.LBB8_591:                              ;   in Loop: Header=BB8_49 Depth=1
	s_or_b64 exec, exec, s[20:21]
	v_and_b32_e32 v0, 16, v62
	v_cmp_ne_u32_e32 vcc, 0, v0
	s_and_b64 s[20:21], vcc, s[18:19]
	s_and_saveexec_b64 s[18:19], s[20:21]
	s_cbranch_execz .LBB8_593
; %bb.592:                              ;   in Loop: Header=BB8_49 Depth=1
	buffer_wbl2 sc1
	s_waitcnt vmcnt(0) lgkmcnt(0)
	buffer_inv sc1
.LBB8_593:                              ;   in Loop: Header=BB8_49 Depth=1
	s_or_b64 exec, exec, s[18:19]
	v_cmp_ne_u32_e32 vcc, 0, v0
	s_xor_b64 s[18:19], s[16:17], -1
	s_and_b64 s[20:21], vcc, s[18:19]
	s_and_saveexec_b64 s[18:19], s[20:21]
	s_cbranch_execz .LBB8_595
; %bb.594:                              ;   in Loop: Header=BB8_49 Depth=1
	v_accvgpr_read_b32 v0, a24
	v_accvgpr_read_b32 v1, a25
	flat_store_dword v[0:1], v12 sc0 sc1
.LBB8_595:                              ;   in Loop: Header=BB8_49 Depth=1
	s_or_b64 exec, exec, s[18:19]
	v_and_b32_e32 v0, 48, v62
	v_cmp_ne_u32_e32 vcc, 0, v0
	s_and_saveexec_b64 s[18:19], vcc
	s_cbranch_execz .LBB8_597
; %bb.596:                              ;   in Loop: Header=BB8_49 Depth=1
	v_accvgpr_read_b32 v0, a12
	v_accvgpr_read_b32 v2, a14
	;; [unrolled: 1-line block ×3, first 2 shown]
	v_lshl_add_u64 v[2:3], v[2:3], 0, 1
	v_accvgpr_read_b32 v1, a13
	v_accvgpr_write_b32 a15, v3
	v_accvgpr_write_b32 a14, v2
	;; [unrolled: 1-line block ×4, first 2 shown]
	flat_store_dwordx2 v[42:43], v[2:3] sc0 sc1
.LBB8_597:                              ;   in Loop: Header=BB8_49 Depth=1
	s_or_b64 exec, exec, s[18:19]
	v_mov_b32_e32 v4, v20
.LBB8_598:                              ;   in Loop: Header=BB8_49 Depth=1
	s_or_b64 exec, exec, s[48:49]
	s_and_saveexec_b64 s[20:21], s[46:47]
	s_cbranch_execz .LBB8_48
; %bb.599:                              ;   in Loop: Header=BB8_49 Depth=1
	v_and_b32_e32 v0, 12, v62
	v_cmp_ne_u32_e32 vcc, 0, v0
	v_accvgpr_read_b32 v0, a12
	v_accvgpr_read_b32 v2, a14
	;; [unrolled: 1-line block ×3, first 2 shown]
	s_mov_b64 s[22:23], -1
	v_lshl_add_u64 v[2:3], v[2:3], 0, 1
	v_accvgpr_read_b32 v1, a13
	s_and_saveexec_b64 s[18:19], vcc
	s_cbranch_execz .LBB8_611
; %bb.600:                              ;   in Loop: Header=BB8_49 Depth=1
	v_accvgpr_read_b32 v8, a12
	v_and_b32_e32 v54, 8, v62
	v_accvgpr_read_b32 v10, a14
	v_accvgpr_read_b32 v11, a15
	v_lshl_add_u64 v[6:7], v[46:47], 0, v[54:55]
	v_lshl_add_u64 v[0:1], v[10:11], 0, 1
	v_cmp_lt_u64_e32 vcc, v[6:7], v[0:1]
	v_mov_b32_e32 v5, 1
	v_accvgpr_read_b32 v9, a13
	s_and_saveexec_b64 s[22:23], vcc
	s_cbranch_execz .LBB8_610
; %bb.601:                              ;   in Loop: Header=BB8_49 Depth=1
	s_mov_b64 s[46:47], 0
	v_mov_b32_e32 v5, 0
                                        ; implicit-def: $sgpr48_sgpr49
	s_branch .LBB8_605
.LBB8_602:                              ;   in Loop: Header=BB8_605 Depth=2
	s_or_b64 exec, exec, s[56:57]
	v_mov_b32_e32 v6, 0
	s_orn2_b64 s[54:55], s[54:55], exec
.LBB8_603:                              ;   in Loop: Header=BB8_605 Depth=2
	s_or_b64 exec, exec, s[52:53]
	s_andn2_b64 vcc, s[48:49], exec
	s_and_b64 s[48:49], s[54:55], exec
	s_or_b64 s[48:49], vcc, s[48:49]
	v_mov_b32_e32 v5, v6
.LBB8_604:                              ;   in Loop: Header=BB8_605 Depth=2
	s_or_b64 exec, exec, s[50:51]
	s_waitcnt vmcnt(0) lgkmcnt(0)
	v_lshl_add_u64 v[6:7], v[46:47], 0, v[54:55]
	v_cmp_ge_u64_e32 vcc, v[6:7], v[0:1]
	s_xor_b64 s[50:51], s[48:49], -1
	s_or_b64 vcc, s[50:51], vcc
	s_and_b64 vcc, exec, vcc
	s_or_b64 s[46:47], vcc, s[46:47]
	s_andn2_b64 exec, exec, s[46:47]
	s_cbranch_execz .LBB8_609
.LBB8_605:                              ;   Parent Loop BB8_49 Depth=1
                                        ; =>  This Inner Loop Header: Depth=2
	s_sleep 1
	flat_load_dwordx2 v[46:47], v[42:43] sc0 sc1
	v_and_b32_e32 v6, 64, v62
	v_cmp_eq_u32_e32 vcc, 0, v6
	s_andn2_b64 s[48:49], s[48:49], exec
	s_and_saveexec_b64 s[50:51], vcc
	s_cbranch_execz .LBB8_604
; %bb.606:                              ;   in Loop: Header=BB8_605 Depth=2
	v_add_u32_e32 v6, 1, v5
	v_cmp_lt_i32_e32 vcc, s68, v5
	s_mov_b64 s[54:55], -1
	s_and_saveexec_b64 s[52:53], vcc
	s_cbranch_execz .LBB8_603
; %bb.607:                              ;   in Loop: Header=BB8_605 Depth=2
	s_trap 2
	ds_read_b64 v[6:7], v0
	s_waitcnt vmcnt(0) lgkmcnt(0)
	flat_load_dword v5, v[6:7] sc0 sc1
	s_waitcnt vmcnt(0) lgkmcnt(0)
	buffer_inv sc0 sc1
	v_cmp_ne_u32_e32 vcc, 0, v5
	s_and_saveexec_b64 s[56:57], vcc
	s_cbranch_execz .LBB8_602
; %bb.608:                              ;   in Loop: Header=BB8_605 Depth=2
	v_or_b32_e32 v62, 64, v62
	s_xor_b64 s[54:55], exec, -1
	ds_write_b32 v0, v5
	s_trap 2
	s_branch .LBB8_602
.LBB8_609:                              ;   in Loop: Header=BB8_49 Depth=1
	s_or_b64 exec, exec, s[46:47]
	v_and_b32_e32 v5, 12, v62
.LBB8_610:                              ;   in Loop: Header=BB8_49 Depth=1
	s_or_b64 exec, exec, s[22:23]
	v_cmp_eq_u32_e32 vcc, 0, v5
	s_orn2_b64 s[22:23], vcc, exec
	;;#ASMSTART
	s_wakeup
	;;#ASMEND
.LBB8_611:                              ;   in Loop: Header=BB8_49 Depth=1
	s_or_b64 exec, exec, s[18:19]
	v_sub_u32_e32 v0, v14, v4
	s_xor_b64 s[18:19], s[22:23], -1
	v_min_i32_e32 v0, v20, v0
	s_and_saveexec_b64 s[22:23], s[18:19]
	s_cbranch_execz .LBB8_623
; %bb.612:                              ;   in Loop: Header=BB8_49 Depth=1
	v_accvgpr_read_b32 v4, a12
	v_and_b32_e32 v1, 0x108, v62
	v_accvgpr_read_b32 v6, a14
	v_cmp_ne_u32_e32 vcc, s69, v1
	v_and_b32_e32 v4, 7, v6
	v_accvgpr_read_b32 v5, a13
	s_and_saveexec_b64 s[18:19], vcc
	s_xor_b64 s[18:19], exec, s[18:19]
	s_andn2_saveexec_b64 s[18:19], s[18:19]
	s_cbranch_execz .LBB8_614
; %bb.613:                              ;   in Loop: Header=BB8_49 Depth=1
	v_accvgpr_read_b32 v6, a12
	v_accvgpr_read_b32 v7, a13
	v_ashrrev_i32_e32 v1, 31, v0
	v_mad_u64_u32 v[6:7], vcc, v4, 24, v[6:7]
	v_lshlrev_b64 v[8:9], 1, v[0:1]
	flat_store_dwordx2 v[6:7], v[8:9] offset:8
.LBB8_614:                              ;   in Loop: Header=BB8_49 Depth=1
	s_or_b64 exec, exec, s[18:19]
	v_and_b32_e32 v1, 0x100, v62
	v_cmp_ne_u32_e32 vcc, 0, v1
	s_mov_b64 s[18:19], -1
                                        ; implicit-def: $vgpr8_vgpr9
	s_and_saveexec_b64 s[46:47], vcc
	s_cbranch_execz .LBB8_618
; %bb.615:                              ;   in Loop: Header=BB8_49 Depth=1
	v_accvgpr_read_b32 v6, a12
	v_accvgpr_read_b32 v7, a13
	v_mad_u64_u32 v[10:11], s[18:19], v4, 24, v[6:7]
	v_mov_b32_e32 v6, v11
	v_mad_u64_u32 v[6:7], s[18:19], v55, 24, v[6:7]
	v_mov_b32_e32 v11, v6
	flat_load_dword v1, v[10:11]
                                        ; implicit-def: $vgpr8_vgpr9
	s_waitcnt vmcnt(0) lgkmcnt(0)
	v_cmp_ne_u32_e32 vcc, 1, v1
	v_cmp_eq_u32_e64 s[18:19], 1, v1
	s_and_saveexec_b64 s[48:49], s[18:19]
	s_cbranch_execz .LBB8_617
; %bb.616:                              ;   in Loop: Header=BB8_49 Depth=1
	flat_load_dword v6, v[10:11] offset:4 sc0 sc1
	s_waitcnt vmcnt(0) lgkmcnt(0)
	v_ashrrev_i32_e32 v7, 31, v6
	v_lshrrev_b64 v[8:9], 1, v[6:7]
.LBB8_617:                              ;   in Loop: Header=BB8_49 Depth=1
	s_or_b64 exec, exec, s[48:49]
	s_orn2_b64 s[18:19], vcc, exec
.LBB8_618:                              ;   in Loop: Header=BB8_49 Depth=1
	s_or_b64 exec, exec, s[46:47]
	s_and_saveexec_b64 vcc, s[18:19]
; %bb.619:                              ;   in Loop: Header=BB8_49 Depth=1
	v_accvgpr_read_b32 v6, a16
	v_mul_lo_u32 v1, v55, v6
	v_mul_lo_u32 v5, v4, v41
	v_mad_u64_u32 v[8:9], s[18:19], v4, v6, 0
	v_add3_u32 v9, v9, v5, v1
; %bb.620:                              ;   in Loop: Header=BB8_49 Depth=1
	s_or_b64 exec, exec, vcc
	v_accvgpr_read_b32 v4, a18
	v_accvgpr_read_b32 v5, a19
	v_and_b32_e32 v1, 0x2000, v62
	v_lshl_add_u64 v[4:5], v[8:9], 1, v[4:5]
	v_cmp_ne_u32_e32 vcc, 0, v1
	s_trap 2
	ds_write_b64 v0, v[4:5]
	s_and_saveexec_b64 s[18:19], vcc
	s_cbranch_execz .LBB8_622
; %bb.621:                              ;   in Loop: Header=BB8_49 Depth=1
	ds_read_b64 v[4:5], v0 offset:584
	s_waitcnt lgkmcnt(0)
	v_lshl_add_u64 v[4:5], v[4:5], 0, 1
	ds_write_b64 v0, v[4:5] offset:584
.LBB8_622:                              ;   in Loop: Header=BB8_49 Depth=1
	s_or_b64 exec, exec, s[18:19]
	v_accvgpr_write_b32 a15, v3
	v_accvgpr_write_b32 a14, v2
.LBB8_623:                              ;   in Loop: Header=BB8_49 Depth=1
	s_or_b64 exec, exec, s[22:23]
	s_and_saveexec_b64 s[18:19], s[6:7]
	s_cbranch_execz .LBB8_642
; %bb.624:                              ;   in Loop: Header=BB8_49 Depth=1
	s_and_saveexec_b64 s[22:23], s[34:35]
	s_xor_b64 s[22:23], exec, s[22:23]
	s_cbranch_execz .LBB8_639
; %bb.625:                              ;   in Loop: Header=BB8_49 Depth=1
	s_and_saveexec_b64 s[46:47], s[10:11]
	s_cbranch_execz .LBB8_638
; %bb.626:                              ;   in Loop: Header=BB8_49 Depth=1
	s_mov_b64 s[50:51], exec
	v_mbcnt_lo_u32_b32 v1, s50, 0
	v_mbcnt_hi_u32_b32 v1, s51, v1
	v_cmp_eq_u32_e32 vcc, 0, v1
	s_waitcnt lgkmcnt(0)
	s_and_saveexec_b64 s[48:49], vcc
	s_cbranch_execz .LBB8_628
; %bb.627:                              ;   in Loop: Header=BB8_49 Depth=1
	s_bcnt1_i32_b64 vcc_lo, s[50:51]
	v_mov_b32_e32 v54, vcc_lo
	ds_add_u64 v0, v[54:55]
	s_trap 2
.LBB8_628:                              ;   in Loop: Header=BB8_49 Depth=1
	s_or_b64 exec, exec, s[48:49]
	s_trap 2
	ds_read_b64 v[2:3], v0
	v_accvgpr_read_b32 v4, a20
	v_accvgpr_read_b32 v6, a26
	;; [unrolled: 1-line block ×4, first 2 shown]
	v_lshl_add_u64 v[4:5], v[4:5], 0, v[6:7]
	v_accvgpr_write_b32 a21, v5
	v_accvgpr_write_b32 a20, v4
	s_waitcnt lgkmcnt(0)
	v_cmp_lt_u64_e32 vcc, v[2:3], v[4:5]
	s_and_saveexec_b64 s[48:49], vcc
	s_cbranch_execz .LBB8_637
; %bb.629:                              ;   in Loop: Header=BB8_49 Depth=1
	s_mov_b32 s60, 0
	s_mov_b64 s[50:51], 0
                                        ; implicit-def: $sgpr52_sgpr53
                                        ; implicit-def: $sgpr54_sgpr55
	s_branch .LBB8_631
.LBB8_630:                              ;   in Loop: Header=BB8_631 Depth=2
	s_or_b64 exec, exec, s[58:59]
	s_and_b64 vcc, exec, vcc
	s_or_b64 s[50:51], vcc, s[50:51]
	s_andn2_b64 vcc, s[52:53], exec
	s_and_b64 s[52:53], s[54:55], exec
	s_or_b64 s[52:53], vcc, s[52:53]
	s_andn2_b64 exec, exec, s[50:51]
	s_cbranch_execz .LBB8_635
.LBB8_631:                              ;   Parent Loop BB8_49 Depth=1
                                        ; =>  This Inner Loop Header: Depth=2
	s_add_i32 s60, s60, 1
	s_cmpk_lg_i32 s60, 0x2710
	s_cselect_b64 s[56:57], -1, 0
	s_and_b64 vcc, exec, s[56:57]
                                        ; implicit-def: $sgpr58_sgpr59
	s_cbranch_vccnz .LBB8_633
; %bb.632:                              ;   in Loop: Header=BB8_631 Depth=2
	s_trap 2
	ds_read_b64 v[2:3], v0
	s_andn2_b64 s[56:57], s[56:57], exec
	s_mov_b32 s60, 0
	s_mov_b64 s[58:59], -1
	s_waitcnt vmcnt(0) lgkmcnt(0)
	flat_load_dword v1, v[2:3] sc0 sc1
	s_waitcnt vmcnt(0) lgkmcnt(0)
	buffer_inv sc0 sc1
	v_cmp_eq_u32_e32 vcc, 0, v1
	s_and_b64 vcc, vcc, exec
	s_or_b64 s[56:57], s[56:57], vcc
.LBB8_633:                              ;   in Loop: Header=BB8_631 Depth=2
	s_andn2_b64 s[54:55], s[54:55], exec
	s_and_b64 s[58:59], s[58:59], exec
	s_mov_b64 vcc, -1
	s_or_b64 s[54:55], s[54:55], s[58:59]
	s_and_saveexec_b64 s[58:59], s[56:57]
	s_cbranch_execz .LBB8_630
; %bb.634:                              ;   in Loop: Header=BB8_631 Depth=2
	s_sleep 1
	s_trap 2
	ds_read_b64 v[2:3], v0
	v_accvgpr_read_b32 v4, a20
	v_accvgpr_read_b32 v5, a21
	s_andn2_b64 s[54:55], s[54:55], exec
	s_waitcnt lgkmcnt(0)
	v_cmp_ge_u64_e32 vcc, v[2:3], v[4:5]
	s_orn2_b64 vcc, vcc, exec
	s_branch .LBB8_630
.LBB8_635:                              ;   in Loop: Header=BB8_49 Depth=1
	s_or_b64 exec, exec, s[50:51]
	s_and_saveexec_b64 vcc, s[52:53]
	s_xor_b64 vcc, exec, vcc
	s_cbranch_execz .LBB8_637
; %bb.636:                              ;   in Loop: Header=BB8_49 Depth=1
	ds_write_b32 v0, v12
	s_trap 2
.LBB8_637:                              ;   in Loop: Header=BB8_49 Depth=1
	s_or_b64 exec, exec, s[48:49]
	;;#ASMSTART
	s_wakeup
	;;#ASMEND
.LBB8_638:                              ;   in Loop: Header=BB8_49 Depth=1
	s_or_b64 exec, exec, s[46:47]
.LBB8_639:                              ;   in Loop: Header=BB8_49 Depth=1
	s_andn2_saveexec_b64 s[22:23], s[22:23]
	s_cbranch_execz .LBB8_641
; %bb.640:                              ;   in Loop: Header=BB8_49 Depth=1
	s_waitcnt lgkmcnt(0)
	s_barrier
.LBB8_641:                              ;   in Loop: Header=BB8_49 Depth=1
	s_or_b64 exec, exec, s[22:23]
.LBB8_642:                              ;   in Loop: Header=BB8_49 Depth=1
	s_or_b64 exec, exec, s[18:19]
	s_trap 2
	ds_read_b32 v1, v0
	v_cmp_lt_i32_e32 vcc, 0, v0
	v_and_b32_e32 v0, 16, v62
	s_waitcnt lgkmcnt(0)
	v_readfirstlane_b32 s18, v1
	s_cmp_eq_u32 s18, 0
	s_cselect_b64 s[18:19], -1, 0
	s_and_b64 s[18:19], vcc, s[18:19]
	v_cmp_ne_u32_e32 vcc, 0, v0
	s_and_b64 s[22:23], vcc, s[18:19]
	s_and_saveexec_b64 s[18:19], s[22:23]
	s_cbranch_execz .LBB8_644
; %bb.643:                              ;   in Loop: Header=BB8_49 Depth=1
	buffer_wbl2 sc1
	s_waitcnt vmcnt(0)
	buffer_inv sc1
.LBB8_644:                              ;   in Loop: Header=BB8_49 Depth=1
	s_or_b64 exec, exec, s[18:19]
	v_cmp_ne_u32_e32 vcc, 0, v0
	s_xor_b64 s[18:19], s[16:17], -1
	s_and_b64 s[22:23], vcc, s[18:19]
	s_and_saveexec_b64 s[18:19], s[22:23]
	s_cbranch_execz .LBB8_646
; %bb.645:                              ;   in Loop: Header=BB8_49 Depth=1
	v_accvgpr_read_b32 v0, a24
	v_accvgpr_read_b32 v1, a25
	flat_store_dword v[0:1], v12 sc0 sc1
.LBB8_646:                              ;   in Loop: Header=BB8_49 Depth=1
	s_or_b64 exec, exec, s[18:19]
	v_and_b32_e32 v0, 48, v62
	v_cmp_ne_u32_e32 vcc, 0, v0
	s_and_saveexec_b64 s[18:19], vcc
	s_cbranch_execz .LBB8_47
; %bb.647:                              ;   in Loop: Header=BB8_49 Depth=1
	v_accvgpr_read_b32 v0, a12
	v_accvgpr_read_b32 v2, a14
	;; [unrolled: 1-line block ×3, first 2 shown]
	v_lshl_add_u64 v[2:3], v[2:3], 0, 1
	v_accvgpr_read_b32 v1, a13
	v_accvgpr_write_b32 a15, v3
	v_accvgpr_write_b32 a14, v2
	;; [unrolled: 1-line block ×4, first 2 shown]
	flat_store_dwordx2 v[42:43], v[2:3] sc0 sc1
	s_branch .LBB8_47
.LBB8_648:
	s_or_b64 exec, exec, s[40:41]
	v_accvgpr_read_b32 v37, a11
	v_accvgpr_read_b32 v51, a15
	;; [unrolled: 1-line block ×8, first 2 shown]
.LBB8_649:
	s_or_b64 exec, exec, s[30:31]
                                        ; implicit-def: $vgpr34_vgpr35
                                        ; implicit-def: $vgpr22_vgpr23
                                        ; implicit-def: $agpr16
                                        ; implicit-def: $vgpr46_vgpr47
                                        ; implicit-def: $agpr18_agpr19
                                        ; implicit-def: $vgpr42_vgpr43
                                        ; implicit-def: $vgpr0
                                        ; implicit-def: $vgpr4
                                        ; implicit-def: $vgpr44_vgpr45
.LBB8_650:
	s_andn2_saveexec_b64 s[20:21], s[28:29]
	s_cbranch_execz .LBB8_1248
; %bb.651:
	v_mov_b64_e32 v[38:39], 0
	s_and_saveexec_b64 s[22:23], s[2:3]
	s_cbranch_execz .LBB8_1247
; %bb.652:
	v_ashrrev_i32_e32 v2, 31, v0
	v_lshrrev_b32_e32 v2, 26, v2
	v_accvgpr_write_b32 a6, v34
	v_add_u32_e32 v2, v0, v2
	v_accvgpr_write_b32 a10, v36
	v_accvgpr_write_b32 a7, v35
	s_lshr_b32 s2, s66, 27
	v_ashrrev_i32_e32 v34, 6, v2
	v_and_b32_e32 v2, 0xffffffc0, v2
	v_accvgpr_write_b32 a11, v37
	s_add_i32 s2, s66, s2
	v_sub_u32_e32 v37, v0, v2
	s_ashr_i32 s62, s2, 5
	v_cmp_ge_i32_e64 s[2:3], v0, v29
	v_lshlrev_b32_e32 v0, 4, v37
	v_lshl_add_u32 v2, v34, 11, v0
	v_ashrrev_i32_e32 v3, 31, v2
	v_lshrrev_b32_e32 v6, 6, v29
	v_accvgpr_write_b32 a27, v3
	v_mov_b32_e32 v0, 0xfffff800
	v_accvgpr_write_b32 a26, v2
	v_lshl_add_u32 v2, v6, 11, v0
	v_ashrrev_i32_e32 v3, 31, v2
	s_mov_b64 s[30:31], 0x800
	v_accvgpr_write_b32 a29, v3
	v_accvgpr_write_b32 a28, v2
	v_lshl_add_u64 v[2:3], v[2:3], 0, s[30:31]
	v_accvgpr_write_b32 a31, v3
	v_lshlrev_b32_e32 v39, 10, v6
	s_waitcnt vmcnt(0)
	v_accvgpr_read_b32 v1, a2
	v_accvgpr_write_b32 a30, v2
	v_add_u32_e32 v2, 0xfffffc00, v39
	v_lshlrev_b32_e32 v52, 7, v6
	v_cmp_ne_u32_sdwa s[28:29], v1, v29 src0_sel:WORD_0 src1_sel:DWORD
	v_and_b32_e32 v1, 63, v31
	v_ashrrev_i32_e32 v3, 31, v2
	v_add_u32_e32 v54, 0xffffff80, v52
	v_cmp_eq_u32_e64 s[6:7], 0, v1
	v_mov_b32_e32 v1, 0
	s_add_i32 s14, s33, 0xb0
	s_mov_b64 s[34:35], 0x400
	v_accvgpr_write_b32 a35, v3
	v_ashrrev_i32_e32 v55, 31, v54
	s_mov_b64 s[36:37], 0x80
	v_accvgpr_write_b32 a0, v31
	v_mov_b32_e32 v7, v1
	v_mov_b32_e32 v0, s14
	s_add_i32 s14, s33, 0x90
	v_accvgpr_write_b32 a34, v2
	v_lshl_add_u64 v[60:61], v[2:3], 0, s[34:35]
	v_lshl_add_u64 v[2:3], v[54:55], 0, s[36:37]
	v_mov_b64_e32 v[30:31], 0
	v_cmp_eq_u32_e32 vcc, 64, v29
	v_add_u32_e32 v38, 16, v0
	v_mov_b32_e32 v0, s14
	s_waitcnt lgkmcnt(0)
	v_accvgpr_write_b32 a25, v7
	v_accvgpr_write_b32 a20, v30
	;; [unrolled: 1-line block ×4, first 2 shown]
	v_cmp_ne_u32_e64 s[4:5], 64, v29
	v_mov_b32_e32 v53, v29
	v_cmp_le_i32_e64 s[10:11], v37, v4
	v_cmp_gt_i32_e64 s[12:13], 1, v37
	v_add_u32_e32 v59, 16, v0
	v_accvgpr_write_b32 a24, v6
	s_mov_b64 s[38:39], 0
	s_movk_i32 s63, 0x270e
	s_xor_b64 s[40:41], vcc, -1
	s_mov_b32 s64, 0x7f800000
	s_movk_i32 s65, 0x7fff
	s_mov_b32 s67, 0xffff0000
	v_accvgpr_write_b32 a21, v31
	v_accvgpr_write_b32 a1, v34
	;; [unrolled: 1-line block ×8, first 2 shown]
	s_trap 2
	s_branch .LBB8_655
.LBB8_653:                              ;   in Loop: Header=BB8_655 Depth=1
	s_or_b64 exec, exec, s[14:15]
.LBB8_654:                              ;   in Loop: Header=BB8_655 Depth=1
	s_or_b64 exec, exec, s[16:17]
	v_accvgpr_read_b32 v45, a23
	v_accvgpr_read_b32 v44, a22
	;; [unrolled: 1-line block ×3, first 2 shown]
	v_lshl_add_u64 v[30:31], v[30:31], 0, v[44:45]
	v_accvgpr_read_b32 v22, a4
	v_cmp_ge_u64_e32 vcc, v[30:31], v[22:23]
	s_or_b64 s[38:39], vcc, s[38:39]
	s_andn2_b64 exec, exec, s[38:39]
	s_cbranch_execz .LBB8_1246
.LBB8_655:                              ; =>This Loop Header: Depth=1
                                        ;     Child Loop BB8_666 Depth 2
                                        ;     Child Loop BB8_688 Depth 2
	;; [unrolled: 1-line block ×5, first 2 shown]
                                        ;       Child Loop BB8_932 Depth 3
                                        ;       Child Loop BB8_969 Depth 3
                                        ;     Child Loop BB8_1046 Depth 2
                                        ;     Child Loop BB8_1153 Depth 2
                                        ;       Child Loop BB8_1154 Depth 3
                                        ;       Child Loop BB8_1163 Depth 3
                                        ;     Child Loop BB8_1184 Depth 2
                                        ;     Child Loop BB8_1209 Depth 2
	;; [unrolled: 1-line block ×3, first 2 shown]
	v_sub_co_u32_e32 v2, vcc, v22, v30
	v_accvgpr_write_b32 a4, v22
	s_nop 0
	v_subb_co_u32_e32 v3, vcc, v23, v31, vcc
	v_cmp_lt_u64_e32 vcc, v[44:45], v[2:3]
	v_accvgpr_write_b32 a22, v44
	v_accvgpr_write_b32 a5, v23
	v_cndmask_b32_e64 v29, v3, 0, vcc
	v_cndmask_b32_e32 v28, v2, v44, vcc
	v_add_u32_e32 v0, 15, v28
	v_cmp_eq_u64_e32 vcc, 0, v[28:29]
	v_and_b32_e32 v0, 0x3ffffff0, v0
	s_or_b64 s[42:43], s[2:3], vcc
	v_accvgpr_write_b32 a23, v45
	v_max_i32_e32 v11, s62, v0
	s_xor_b64 s[14:15], s[42:43], -1
	v_mov_b32_e32 v10, 0
	s_and_saveexec_b64 s[44:45], s[14:15]
	s_cbranch_execz .LBB8_1200
; %bb.656:                              ;   in Loop: Header=BB8_655 Depth=1
	s_and_saveexec_b64 s[14:15], s[0:1]
	s_cbranch_execz .LBB8_658
; %bb.657:                              ;   in Loop: Header=BB8_655 Depth=1
	s_trap 2
	ds_read2_b64 v[2:5], v0 offset1:1
	ds_read_b64 v[8:9], v0
	v_accvgpr_read_b32 v6, a6
	v_accvgpr_read_b32 v7, a7
	v_lshl_add_u64 v[6:7], v[30:31], 0, v[6:7]
	v_lshlrev_b64 v[6:7], 1, v[6:7]
	s_waitcnt lgkmcnt(0)
	v_lshl_add_u64 v[2:3], v[2:3], 0, v[6:7]
	ds_write_b64 v0, v[2:3]
	v_lshl_add_u64 v[2:3], v[4:5], 0, v[6:7]
	ds_write_b64 v0, v[2:3]
	s_waitcnt lgkmcnt(2)
	v_lshl_add_u64 v[2:3], v[8:9], 0, v[6:7]
	v_cmp_ne_u64_e32 vcc, 0, v[8:9]
	s_nop 1
	v_cndmask_b32_e32 v3, 0, v3, vcc
	v_cndmask_b32_e32 v2, 0, v2, vcc
	ds_write_b64 v0, v[2:3]
.LBB8_658:                              ;   in Loop: Header=BB8_655 Depth=1
	s_or_b64 exec, exec, s[14:15]
	v_and_b32_e32 v0, 4, v62
	v_cmp_ne_u32_e32 vcc, 0, v0
	s_mov_b64 s[16:17], -1
	v_lshl_add_u64 v[2:3], v[50:51], 0, 1
	s_and_saveexec_b64 s[14:15], vcc
	s_cbranch_execnz .LBB8_661
; %bb.659:                              ;   in Loop: Header=BB8_655 Depth=1
	s_or_b64 exec, exec, s[14:15]
	s_xor_b64 s[14:15], s[16:17], -1
	s_and_saveexec_b64 s[16:17], s[14:15]
	s_cbranch_execnz .LBB8_672
.LBB8_660:                              ;   in Loop: Header=BB8_655 Depth=1
	s_or_b64 exec, exec, s[16:17]
	s_and_saveexec_b64 s[14:15], s[4:5]
	s_cbranch_execnz .LBB8_681
	s_branch .LBB8_699
.LBB8_661:                              ;   in Loop: Header=BB8_655 Depth=1
	v_lshl_add_u64 v[4:5], v[50:51], 0, 1
	v_cmp_lt_u64_e32 vcc, v[46:47], v[4:5]
	v_mov_b32_e32 v0, 1
	s_and_saveexec_b64 s[16:17], vcc
	s_cbranch_execz .LBB8_671
; %bb.662:                              ;   in Loop: Header=BB8_655 Depth=1
	s_mov_b64 s[18:19], 0
	v_mov_b32_e32 v0, 0
                                        ; implicit-def: $sgpr46_sgpr47
	s_branch .LBB8_666
.LBB8_663:                              ;   in Loop: Header=BB8_666 Depth=2
	s_or_b64 exec, exec, s[54:55]
	v_mov_b32_e32 v6, 0
	s_orn2_b64 s[52:53], s[52:53], exec
.LBB8_664:                              ;   in Loop: Header=BB8_666 Depth=2
	s_or_b64 exec, exec, s[50:51]
	s_andn2_b64 vcc, s[46:47], exec
	s_and_b64 s[46:47], s[52:53], exec
	s_or_b64 s[46:47], vcc, s[46:47]
	v_mov_b32_e32 v0, v6
.LBB8_665:                              ;   in Loop: Header=BB8_666 Depth=2
	s_or_b64 exec, exec, s[48:49]
	s_waitcnt vmcnt(0) lgkmcnt(0)
	v_cmp_ge_u64_e32 vcc, v[46:47], v[4:5]
	s_xor_b64 s[48:49], s[46:47], -1
	s_or_b64 vcc, s[48:49], vcc
	s_and_b64 vcc, exec, vcc
	s_or_b64 s[18:19], vcc, s[18:19]
	s_andn2_b64 exec, exec, s[18:19]
	s_cbranch_execz .LBB8_670
.LBB8_666:                              ;   Parent Loop BB8_655 Depth=1
                                        ; =>  This Inner Loop Header: Depth=2
	s_sleep 1
	flat_load_dwordx2 v[46:47], v[42:43] sc0 sc1
	v_and_b32_e32 v6, 64, v62
	v_cmp_eq_u32_e32 vcc, 0, v6
	s_andn2_b64 s[46:47], s[46:47], exec
	s_and_saveexec_b64 s[48:49], vcc
	s_cbranch_execz .LBB8_665
; %bb.667:                              ;   in Loop: Header=BB8_666 Depth=2
	v_add_u32_e32 v6, 1, v0
	v_cmp_lt_i32_e32 vcc, s63, v0
	s_mov_b64 s[52:53], -1
	s_and_saveexec_b64 s[50:51], vcc
	s_cbranch_execz .LBB8_664
; %bb.668:                              ;   in Loop: Header=BB8_666 Depth=2
	s_trap 2
	ds_read_b64 v[6:7], v0
	s_waitcnt vmcnt(0) lgkmcnt(0)
	flat_load_dword v0, v[6:7] sc0 sc1
	s_waitcnt vmcnt(0) lgkmcnt(0)
	buffer_inv sc0 sc1
	v_cmp_ne_u32_e32 vcc, 0, v0
	s_and_saveexec_b64 s[54:55], vcc
	s_cbranch_execz .LBB8_663
; %bb.669:                              ;   in Loop: Header=BB8_666 Depth=2
	v_or_b32_e32 v62, 64, v62
	s_xor_b64 s[52:53], exec, -1
	ds_write_b32 v0, v0
	s_trap 2
	s_branch .LBB8_663
.LBB8_670:                              ;   in Loop: Header=BB8_655 Depth=1
	s_or_b64 exec, exec, s[18:19]
	v_and_b32_e32 v0, 4, v62
.LBB8_671:                              ;   in Loop: Header=BB8_655 Depth=1
	s_or_b64 exec, exec, s[16:17]
	v_cmp_eq_u32_e32 vcc, 0, v0
	s_orn2_b64 s[16:17], vcc, exec
	;;#ASMSTART
	s_wakeup
	;;#ASMEND
	s_or_b64 exec, exec, s[14:15]
	s_xor_b64 s[14:15], s[16:17], -1
	s_and_saveexec_b64 s[16:17], s[14:15]
	s_cbranch_execz .LBB8_660
.LBB8_672:                              ;   in Loop: Header=BB8_655 Depth=1
	v_and_b32_e32 v0, 0x100, v62
	v_cmp_ne_u32_e32 vcc, 0, v0
	v_and_b32_e32 v0, 7, v50
	s_mov_b64 s[14:15], -1
                                        ; implicit-def: $vgpr4_vgpr5
	s_and_saveexec_b64 s[18:19], vcc
	s_cbranch_execz .LBB8_676
; %bb.673:                              ;   in Loop: Header=BB8_655 Depth=1
	v_mad_u64_u32 v[8:9], s[14:15], v0, 24, v[48:49]
	flat_load_dword v4, v[8:9]
	s_waitcnt vmcnt(0) lgkmcnt(0)
	v_cmp_ne_u32_e32 vcc, 1, v4
	v_cmp_eq_u32_e64 s[14:15], 1, v4
                                        ; implicit-def: $vgpr4_vgpr5
	s_and_saveexec_b64 s[46:47], s[14:15]
	s_cbranch_execz .LBB8_675
; %bb.674:                              ;   in Loop: Header=BB8_655 Depth=1
	flat_load_dword v4, v[8:9] offset:4 sc0 sc1
	s_waitcnt vmcnt(0) lgkmcnt(0)
	v_ashrrev_i32_e32 v5, 31, v4
	v_lshrrev_b64 v[4:5], 1, v[4:5]
.LBB8_675:                              ;   in Loop: Header=BB8_655 Depth=1
	s_or_b64 exec, exec, s[46:47]
	s_orn2_b64 s[14:15], vcc, exec
.LBB8_676:                              ;   in Loop: Header=BB8_655 Depth=1
	s_or_b64 exec, exec, s[18:19]
	s_and_saveexec_b64 s[18:19], s[14:15]
; %bb.677:                              ;   in Loop: Header=BB8_655 Depth=1
	v_accvgpr_read_b32 v4, a16
	v_mad_i64_i32 v[4:5], s[14:15], v0, v4, 0
; %bb.678:                              ;   in Loop: Header=BB8_655 Depth=1
	s_or_b64 exec, exec, s[18:19]
	v_accvgpr_read_b32 v6, a18
	v_accvgpr_read_b32 v7, a19
	v_lshl_add_u64 v[4:5], v[4:5], 1, v[6:7]
	ds_write_b64 v0, v[4:5] offset:728
	v_and_b32_e32 v0, 0x2000, v62
	v_cmp_ne_u32_e32 vcc, 0, v0
	s_and_saveexec_b64 s[14:15], vcc
	s_cbranch_execz .LBB8_680
; %bb.679:                              ;   in Loop: Header=BB8_655 Depth=1
	ds_read_b64 v[4:5], v0 offset:584
	s_waitcnt lgkmcnt(0)
	v_lshl_add_u64 v[4:5], v[4:5], 0, 1
	ds_write_b64 v0, v[4:5] offset:584
.LBB8_680:                              ;   in Loop: Header=BB8_655 Depth=1
	s_or_b64 exec, exec, s[14:15]
	v_mov_b64_e32 v[50:51], v[2:3]
	s_or_b64 exec, exec, s[16:17]
	s_and_saveexec_b64 s[14:15], s[4:5]
	s_cbranch_execz .LBB8_699
.LBB8_681:                              ;   in Loop: Header=BB8_655 Depth=1
	s_and_saveexec_b64 s[16:17], s[28:29]
	s_xor_b64 s[16:17], exec, s[16:17]
	s_cbranch_execz .LBB8_696
; %bb.682:                              ;   in Loop: Header=BB8_655 Depth=1
	s_and_saveexec_b64 s[18:19], s[6:7]
	s_cbranch_execz .LBB8_695
; %bb.683:                              ;   in Loop: Header=BB8_655 Depth=1
	s_mov_b64 s[48:49], exec
	v_mbcnt_lo_u32_b32 v0, s48, 0
	v_mbcnt_hi_u32_b32 v0, s49, v0
	v_cmp_eq_u32_e32 vcc, 0, v0
	s_waitcnt lgkmcnt(0)
	s_and_saveexec_b64 s[46:47], vcc
	s_cbranch_execz .LBB8_685
; %bb.684:                              ;   in Loop: Header=BB8_655 Depth=1
	s_bcnt1_i32_b64 vcc_lo, s[48:49]
	v_mov_b32_e32 v0, vcc_lo
	ds_add_u64 v0, v[0:1]
	s_trap 2
.LBB8_685:                              ;   in Loop: Header=BB8_655 Depth=1
	s_or_b64 exec, exec, s[46:47]
	s_trap 2
	ds_read_b64 v[2:3], v0
	v_accvgpr_read_b32 v4, a20
	v_accvgpr_read_b32 v6, a24
	;; [unrolled: 1-line block ×4, first 2 shown]
	v_lshl_add_u64 v[4:5], v[4:5], 0, v[6:7]
	v_accvgpr_write_b32 a21, v5
	v_accvgpr_write_b32 a20, v4
	s_waitcnt lgkmcnt(0)
	v_cmp_lt_u64_e32 vcc, v[2:3], v[4:5]
	s_and_saveexec_b64 s[46:47], vcc
	s_cbranch_execz .LBB8_694
; %bb.686:                              ;   in Loop: Header=BB8_655 Depth=1
	s_mov_b32 s58, 0
	s_mov_b64 s[48:49], 0
                                        ; implicit-def: $sgpr50_sgpr51
                                        ; implicit-def: $sgpr52_sgpr53
	s_branch .LBB8_688
.LBB8_687:                              ;   in Loop: Header=BB8_688 Depth=2
	s_or_b64 exec, exec, s[56:57]
	s_and_b64 vcc, exec, vcc
	s_or_b64 s[48:49], vcc, s[48:49]
	s_andn2_b64 vcc, s[50:51], exec
	s_and_b64 s[50:51], s[52:53], exec
	s_or_b64 s[50:51], vcc, s[50:51]
	s_andn2_b64 exec, exec, s[48:49]
	s_cbranch_execz .LBB8_692
.LBB8_688:                              ;   Parent Loop BB8_655 Depth=1
                                        ; =>  This Inner Loop Header: Depth=2
	s_add_i32 s58, s58, 1
	s_cmpk_lg_i32 s58, 0x2710
	s_cselect_b64 s[54:55], -1, 0
	s_and_b64 vcc, exec, s[54:55]
                                        ; implicit-def: $sgpr56_sgpr57
	s_cbranch_vccnz .LBB8_690
; %bb.689:                              ;   in Loop: Header=BB8_688 Depth=2
	s_trap 2
	ds_read_b64 v[2:3], v0
	s_andn2_b64 s[54:55], s[54:55], exec
	s_mov_b32 s58, 0
	s_mov_b64 s[56:57], -1
	s_waitcnt lgkmcnt(0)
	flat_load_dword v0, v[2:3] sc0 sc1
	s_waitcnt vmcnt(0) lgkmcnt(0)
	buffer_inv sc0 sc1
	v_cmp_eq_u32_e32 vcc, 0, v0
	s_and_b64 vcc, vcc, exec
	s_or_b64 s[54:55], s[54:55], vcc
.LBB8_690:                              ;   in Loop: Header=BB8_688 Depth=2
	s_andn2_b64 s[52:53], s[52:53], exec
	s_and_b64 s[56:57], s[56:57], exec
	s_mov_b64 vcc, -1
	s_or_b64 s[52:53], s[52:53], s[56:57]
	s_and_saveexec_b64 s[56:57], s[54:55]
	s_cbranch_execz .LBB8_687
; %bb.691:                              ;   in Loop: Header=BB8_688 Depth=2
	s_sleep 1
	s_trap 2
	ds_read_b64 v[2:3], v0
	v_accvgpr_read_b32 v4, a20
	v_accvgpr_read_b32 v5, a21
	s_andn2_b64 s[52:53], s[52:53], exec
	s_waitcnt lgkmcnt(0)
	v_cmp_ge_u64_e32 vcc, v[2:3], v[4:5]
	s_orn2_b64 vcc, vcc, exec
	s_branch .LBB8_687
.LBB8_692:                              ;   in Loop: Header=BB8_655 Depth=1
	s_or_b64 exec, exec, s[48:49]
	s_and_saveexec_b64 vcc, s[50:51]
	s_xor_b64 vcc, exec, vcc
	s_cbranch_execz .LBB8_694
; %bb.693:                              ;   in Loop: Header=BB8_655 Depth=1
	v_mov_b32_e32 v0, 1
	ds_write_b32 v0, v0
	s_trap 2
.LBB8_694:                              ;   in Loop: Header=BB8_655 Depth=1
	s_or_b64 exec, exec, s[46:47]
	;;#ASMSTART
	s_wakeup
	;;#ASMEND
.LBB8_695:                              ;   in Loop: Header=BB8_655 Depth=1
	s_or_b64 exec, exec, s[18:19]
.LBB8_696:                              ;   in Loop: Header=BB8_655 Depth=1
	s_andn2_saveexec_b64 s[16:17], s[16:17]
	s_cbranch_execz .LBB8_698
; %bb.697:                              ;   in Loop: Header=BB8_655 Depth=1
	s_waitcnt lgkmcnt(0)
	s_barrier
.LBB8_698:                              ;   in Loop: Header=BB8_655 Depth=1
	s_or_b64 exec, exec, s[16:17]
.LBB8_699:                              ;   in Loop: Header=BB8_655 Depth=1
	s_or_b64 exec, exec, s[14:15]
	s_trap 2
	ds_read_b32 v2, v0
	v_and_b32_e32 v0, 0x4000, v62
	v_cmp_ne_u32_e32 vcc, 0, v0
	s_and_b64 s[16:17], s[40:41], vcc
	s_and_saveexec_b64 s[14:15], s[16:17]
	s_cbranch_execz .LBB8_718
; %bb.700:                              ;   in Loop: Header=BB8_655 Depth=1
	s_and_saveexec_b64 s[16:17], s[28:29]
	s_xor_b64 s[16:17], exec, s[16:17]
	s_cbranch_execz .LBB8_715
; %bb.701:                              ;   in Loop: Header=BB8_655 Depth=1
	s_and_saveexec_b64 s[18:19], s[6:7]
	s_cbranch_execz .LBB8_714
; %bb.702:                              ;   in Loop: Header=BB8_655 Depth=1
	s_mov_b64 s[48:49], exec
	v_mbcnt_lo_u32_b32 v0, s48, 0
	v_mbcnt_hi_u32_b32 v0, s49, v0
	v_cmp_eq_u32_e32 vcc, 0, v0
	s_waitcnt lgkmcnt(0)
	s_and_saveexec_b64 s[46:47], vcc
	s_cbranch_execz .LBB8_704
; %bb.703:                              ;   in Loop: Header=BB8_655 Depth=1
	s_bcnt1_i32_b64 vcc_lo, s[48:49]
	v_mov_b32_e32 v0, vcc_lo
	ds_add_u64 v0, v[0:1]
	s_trap 2
.LBB8_704:                              ;   in Loop: Header=BB8_655 Depth=1
	s_or_b64 exec, exec, s[46:47]
	s_trap 2
	ds_read_b64 v[4:5], v0
	v_accvgpr_read_b32 v6, a20
	v_accvgpr_read_b32 v8, a24
	;; [unrolled: 1-line block ×4, first 2 shown]
	v_lshl_add_u64 v[6:7], v[6:7], 0, v[8:9]
	v_accvgpr_write_b32 a21, v7
	v_accvgpr_write_b32 a20, v6
	s_waitcnt lgkmcnt(0)
	v_cmp_lt_u64_e32 vcc, v[4:5], v[6:7]
	s_and_saveexec_b64 s[46:47], vcc
	s_cbranch_execz .LBB8_713
; %bb.705:                              ;   in Loop: Header=BB8_655 Depth=1
	s_mov_b32 s58, 0
	s_mov_b64 s[48:49], 0
                                        ; implicit-def: $sgpr50_sgpr51
                                        ; implicit-def: $sgpr52_sgpr53
	s_branch .LBB8_707
.LBB8_706:                              ;   in Loop: Header=BB8_707 Depth=2
	s_or_b64 exec, exec, s[56:57]
	s_and_b64 vcc, exec, vcc
	s_or_b64 s[48:49], vcc, s[48:49]
	s_andn2_b64 vcc, s[50:51], exec
	s_and_b64 s[50:51], s[52:53], exec
	s_or_b64 s[50:51], vcc, s[50:51]
	s_andn2_b64 exec, exec, s[48:49]
	s_cbranch_execz .LBB8_711
.LBB8_707:                              ;   Parent Loop BB8_655 Depth=1
                                        ; =>  This Inner Loop Header: Depth=2
	s_add_i32 s58, s58, 1
	s_cmpk_lg_i32 s58, 0x2710
	s_cselect_b64 s[54:55], -1, 0
	s_and_b64 vcc, exec, s[54:55]
                                        ; implicit-def: $sgpr56_sgpr57
	s_cbranch_vccnz .LBB8_709
; %bb.708:                              ;   in Loop: Header=BB8_707 Depth=2
	s_trap 2
	ds_read_b64 v[4:5], v0
	s_andn2_b64 s[54:55], s[54:55], exec
	s_mov_b32 s58, 0
	s_mov_b64 s[56:57], -1
	s_waitcnt lgkmcnt(0)
	flat_load_dword v0, v[4:5] sc0 sc1
	s_waitcnt vmcnt(0) lgkmcnt(0)
	buffer_inv sc0 sc1
	v_cmp_eq_u32_e32 vcc, 0, v0
	s_and_b64 vcc, vcc, exec
	s_or_b64 s[54:55], s[54:55], vcc
.LBB8_709:                              ;   in Loop: Header=BB8_707 Depth=2
	s_andn2_b64 s[52:53], s[52:53], exec
	s_and_b64 s[56:57], s[56:57], exec
	s_mov_b64 vcc, -1
	s_or_b64 s[52:53], s[52:53], s[56:57]
	s_and_saveexec_b64 s[56:57], s[54:55]
	s_cbranch_execz .LBB8_706
; %bb.710:                              ;   in Loop: Header=BB8_707 Depth=2
	s_sleep 1
	s_trap 2
	ds_read_b64 v[4:5], v0
	v_accvgpr_read_b32 v6, a20
	v_accvgpr_read_b32 v7, a21
	s_andn2_b64 s[52:53], s[52:53], exec
	s_waitcnt lgkmcnt(0)
	v_cmp_ge_u64_e32 vcc, v[4:5], v[6:7]
	s_orn2_b64 vcc, vcc, exec
	s_branch .LBB8_706
.LBB8_711:                              ;   in Loop: Header=BB8_655 Depth=1
	s_or_b64 exec, exec, s[48:49]
	s_and_saveexec_b64 vcc, s[50:51]
	s_xor_b64 vcc, exec, vcc
	s_cbranch_execz .LBB8_713
; %bb.712:                              ;   in Loop: Header=BB8_655 Depth=1
	v_mov_b32_e32 v0, 1
	ds_write_b32 v0, v0
	s_trap 2
.LBB8_713:                              ;   in Loop: Header=BB8_655 Depth=1
	s_or_b64 exec, exec, s[46:47]
	;;#ASMSTART
	s_wakeup
	;;#ASMEND
.LBB8_714:                              ;   in Loop: Header=BB8_655 Depth=1
	s_or_b64 exec, exec, s[18:19]
.LBB8_715:                              ;   in Loop: Header=BB8_655 Depth=1
	s_andn2_saveexec_b64 s[16:17], s[16:17]
	s_cbranch_execz .LBB8_717
; %bb.716:                              ;   in Loop: Header=BB8_655 Depth=1
	s_waitcnt lgkmcnt(0)
	s_barrier
.LBB8_717:                              ;   in Loop: Header=BB8_655 Depth=1
	s_or_b64 exec, exec, s[16:17]
.LBB8_718:                              ;   in Loop: Header=BB8_655 Depth=1
	s_or_b64 exec, exec, s[14:15]
	s_trap 2
	ds_read_b64 v[4:5], v0
	v_min_u32_e32 v11, v11, v28
	s_waitcnt lgkmcnt(0)
	v_readfirstlane_b32 s14, v4
	v_readfirstlane_b32 s15, v5
	s_cmp_eq_u64 s[14:15], 0
	s_cselect_b64 s[14:15], -1, 0
	s_or_b64 s[16:17], s[14:15], s[14:15]
	s_mov_b64 s[14:15], 0
	s_and_b64 vcc, exec, s[16:17]
	s_cbranch_vccnz .LBB8_1176
; %bb.719:                              ;   in Loop: Header=BB8_655 Depth=1
	s_mov_b64 s[14:15], -1
	s_and_saveexec_b64 s[16:17], s[10:11]
	s_cbranch_execz .LBB8_721
; %bb.720:                              ;   in Loop: Header=BB8_655 Depth=1
	ds_read_b32 v0, v0 offset:720
	s_waitcnt lgkmcnt(0)
	v_and_b32_e32 v0, 15, v0
	v_cmp_eq_u32_e32 vcc, 0, v0
	s_orn2_b64 s[14:15], vcc, exec
.LBB8_721:                              ;   in Loop: Header=BB8_655 Depth=1
	s_or_b64 exec, exec, s[16:17]
	s_and_saveexec_b64 s[16:17], s[12:13]
	s_cbranch_execz .LBB8_723
; %bb.722:                              ;   in Loop: Header=BB8_655 Depth=1
	ds_read_b32 v0, v0 offset:784
	s_waitcnt lgkmcnt(0)
	v_and_b32_e32 v0, 15, v0
	v_cmp_eq_u32_e32 vcc, 0, v0
	s_and_b64 s[18:19], s[14:15], vcc
	s_andn2_b64 s[14:15], s[14:15], exec
	s_and_b64 s[18:19], s[18:19], exec
	s_or_b64 s[14:15], s[14:15], s[18:19]
.LBB8_723:                              ;   in Loop: Header=BB8_655 Depth=1
	s_or_b64 exec, exec, s[16:17]
	v_cmp_eq_u32_e32 vcc, 0, v2
	s_xor_b64 s[14:15], s[14:15], -1
	v_mov_b32_e32 v14, 0
	v_cndmask_b32_e32 v2, 0, v11, vcc
	v_lshlrev_b32_e32 v0, 1, v2
	v_accvgpr_write_b32 a43, v0
	v_cndmask_b32_e64 v0, 0, 1, s[14:15]
	;;#ASMSTART
	;;#ASMEND
	s_trap 2
	ds_read_b64 v[4:5], v0
	v_accvgpr_write_b32 a41, v11
	s_mov_b64 s[14:15], -1
	v_cmp_ne_u32_e32 vcc, 0, v0
	s_cbranch_vccz .LBB8_725
; %bb.724:                              ;   in Loop: Header=BB8_655 Depth=1
	s_waitcnt lgkmcnt(0)
	v_accvgpr_write_b32 a45, v5
	v_accvgpr_write_b32 a44, v4
	v_accvgpr_write_b32 a42, v2
	v_mov_b32_e32 v15, v37
	v_mov_b32_e32 v2, v34
	s_and_saveexec_b64 s[18:19], s[14:15]
	s_cbranch_execnz .LBB8_1043
	s_branch .LBB8_1175
.LBB8_725:                              ;   in Loop: Header=BB8_655 Depth=1
	v_accvgpr_write_b32 a42, v2
	v_lshrrev_b32_e32 v0, 10, v2
	v_accvgpr_read_b32 v2, a26
	v_accvgpr_write_b32 a46, v0
	v_sub_u32_e32 v0, v0, v34
	v_accvgpr_read_b32 v3, a27
	s_waitcnt lgkmcnt(0)
	v_accvgpr_write_b32 a45, v5
	v_accvgpr_write_b32 a44, v4
	v_lshl_add_u64 v[40:41], v[4:5], 0, v[2:3]
	v_cmp_lt_i32_e32 vcc, 0, v0
	s_mov_b64 s[16:17], 0
                                        ; implicit-def: $vgpr22_vgpr23
                                        ; implicit-def: $vgpr18_vgpr19
                                        ; implicit-def: $vgpr14_vgpr15
                                        ; implicit-def: $vgpr10_vgpr11
	s_and_saveexec_b64 s[14:15], vcc
	s_cbranch_execz .LBB8_861
; %bb.726:                              ;   in Loop: Header=BB8_655 Depth=1
	s_trap 2
	ds_read_b128 v[2:5], v0
	v_accvgpr_read_b32 v6, a26
	v_accvgpr_write_b32 a12, v48
	v_accvgpr_read_b32 v7, a27
	v_accvgpr_write_b32 a40, v28
	v_accvgpr_write_b32 a13, v49
	;; [unrolled: 1-line block ×4, first 2 shown]
	s_mov_b64 s[46:47], 0
	s_waitcnt lgkmcnt(0)
	v_lshl_add_u64 v[2:3], v[2:3], 0, v[6:7]
	v_lshl_add_u64 v[54:55], v[4:5], 0, v[6:7]
                                        ; implicit-def: $sgpr18_sgpr19
                                        ; implicit-def: $vgpr12_vgpr13
                                        ; implicit-def: $vgpr16_vgpr17
                                        ; implicit-def: $vgpr20_vgpr21
                                        ; implicit-def: $vgpr24_vgpr25
	s_branch .LBB8_728
.LBB8_727:                              ;   in Loop: Header=BB8_728 Depth=2
	s_or_b64 exec, exec, s[48:49]
	v_lshrrev_b32_e32 v2, 16, v37
	v_and_or_b32 v33, v48, s67, v2
	v_lshrrev_b32_e32 v2, 16, v58
	v_and_or_b32 v32, v36, s67, v2
	;; [unrolled: 2-line block ×8, first 2 shown]
	v_accvgpr_read_b32 v4, a28
	v_accvgpr_read_b32 v5, a29
	v_lshl_add_u64 v[2:3], v[56:57], 0, v[4:5]
	v_lshl_add_u64 v[4:5], v[54:55], 0, v[4:5]
	v_cndmask_b32_e64 v55, v55, v5, s[46:47]
	v_cndmask_b32_e64 v54, v54, v4, s[46:47]
	v_accvgpr_read_b32 v4, a24
	v_cndmask_b32_e64 v4, 0, v4, s[46:47]
	v_sub_u32_e32 v0, v0, v4
	global_store_dwordx4 v[40:41], v[32:35], off nt
	global_store_dwordx4 v[40:41], v[6:9], off offset:1024 nt
	v_cmp_gt_i32_e32 vcc, 1, v0
	s_or_b64 s[16:17], vcc, s[16:17]
	v_accvgpr_read_b32 v6, a30
	v_accvgpr_read_b32 v7, a31
	v_mov_b32_e32 v8, 0x800
	v_cndmask_b32_e64 v7, 0, v7, s[46:47]
	v_cndmask_b32_e64 v6, v8, v6, s[46:47]
	s_andn2_b64 s[18:19], s[18:19], exec
	s_and_b64 vcc, s[46:47], exec
	v_lshl_add_u64 v[40:41], v[40:41], 0, v[6:7]
	v_cndmask_b32_e64 v3, v57, v3, s[46:47]
	v_cndmask_b32_e64 v2, v56, v2, s[46:47]
	s_or_b64 s[18:19], s[18:19], vcc
	v_accvgpr_read_b32 v5, a25
	s_andn2_b64 exec, exec, s[16:17]
	s_cbranch_execz .LBB8_860
.LBB8_728:                              ;   Parent Loop BB8_655 Depth=1
                                        ; =>  This Inner Loop Header: Depth=2
	global_load_dwordx4 v[48:51], v[2:3], off nt
	global_load_dwordx4 v[32:35], v[2:3], off offset:1024 nt
	global_load_dwordx4 v[36:39], v[54:55], off nt
	global_load_dwordx4 v[26:29], v[54:55], off offset:1024 nt
	s_and_saveexec_b64 s[48:49], s[46:47]
	s_cbranch_execz .LBB8_794
; %bb.729:                              ;   in Loop: Header=BB8_728 Depth=2
	v_lshlrev_b32_e32 v4, 16, v22
	v_lshlrev_b32_e32 v6, 16, v18
	v_pk_mul_f32 v[4:5], v[4:5], v[6:7] op_sel_hi:[0,1]
	v_and_b32_e32 v5, 0x7f800000, v4
	v_cmp_ne_u32_e32 vcc, s64, v5
                                        ; implicit-def: $vgpr56
	s_and_saveexec_b64 s[46:47], vcc
	s_xor_b64 vcc, exec, s[46:47]
; %bb.730:                              ;   in Loop: Header=BB8_728 Depth=2
	v_bfe_u32 v5, v4, 16, 1
	v_add3_u32 v56, v4, v5, s65
                                        ; implicit-def: $vgpr4_vgpr5
; %bb.731:                              ;   in Loop: Header=BB8_728 Depth=2
	s_andn2_saveexec_b64 s[46:47], vcc
; %bb.732:                              ;   in Loop: Header=BB8_728 Depth=2
	v_or_b32_e32 v5, 0x10000, v4
	v_cmp_eq_u32_sdwa vcc, v4, v1 src0_sel:WORD_0 src1_sel:DWORD
	s_nop 1
	v_cndmask_b32_e32 v56, v5, v4, vcc
; %bb.733:                              ;   in Loop: Header=BB8_728 Depth=2
	s_or_b64 exec, exec, s[46:47]
	v_mov_b32_e32 v4, v18
	v_mov_b32_e32 v5, v22
	v_and_b32_e32 v6, 0xffff0000, v5
	v_and_b32_e32 v4, 0xffff0000, v4
	v_pk_mul_f32 v[4:5], v[6:7], v[4:5] op_sel_hi:[0,1]
	v_and_b32_e32 v5, 0x7f800000, v4
	v_cmp_ne_u32_e32 vcc, s64, v5
                                        ; implicit-def: $vgpr22
	s_and_saveexec_b64 s[46:47], vcc
	s_xor_b64 vcc, exec, s[46:47]
; %bb.734:                              ;   in Loop: Header=BB8_728 Depth=2
	v_bfe_u32 v5, v4, 16, 1
	v_add3_u32 v22, v4, v5, s65
                                        ; implicit-def: $vgpr4_vgpr5
; %bb.735:                              ;   in Loop: Header=BB8_728 Depth=2
	s_andn2_saveexec_b64 s[46:47], vcc
; %bb.736:                              ;   in Loop: Header=BB8_728 Depth=2
	v_or_b32_e32 v5, 0x10000, v4
	v_cmp_eq_u32_sdwa vcc, v4, v1 src0_sel:WORD_0 src1_sel:DWORD
	s_nop 1
	v_cndmask_b32_e32 v22, v5, v4, vcc
; %bb.737:                              ;   in Loop: Header=BB8_728 Depth=2
	s_or_b64 exec, exec, s[46:47]
	v_lshlrev_b32_e32 v4, 16, v23
	v_lshlrev_b32_e32 v6, 16, v19
	v_pk_mul_f32 v[4:5], v[4:5], v[6:7] op_sel_hi:[0,1]
	v_and_b32_e32 v5, 0x7f800000, v4
	v_cmp_ne_u32_e32 vcc, s64, v5
                                        ; implicit-def: $vgpr57
	s_and_saveexec_b64 s[46:47], vcc
	s_xor_b64 vcc, exec, s[46:47]
; %bb.738:                              ;   in Loop: Header=BB8_728 Depth=2
	v_bfe_u32 v5, v4, 16, 1
	v_add3_u32 v57, v4, v5, s65
                                        ; implicit-def: $vgpr4_vgpr5
; %bb.739:                              ;   in Loop: Header=BB8_728 Depth=2
	s_andn2_saveexec_b64 s[46:47], vcc
; %bb.740:                              ;   in Loop: Header=BB8_728 Depth=2
	v_or_b32_e32 v5, 0x10000, v4
	v_cmp_eq_u32_sdwa vcc, v4, v1 src0_sel:WORD_0 src1_sel:DWORD
	s_nop 1
	v_cndmask_b32_e32 v57, v5, v4, vcc
; %bb.741:                              ;   in Loop: Header=BB8_728 Depth=2
	s_or_b64 exec, exec, s[46:47]
	v_mov_b32_e32 v4, v19
	v_and_b32_e32 v6, 0xffff0000, v23
	v_and_b32_e32 v4, 0xffff0000, v4
	v_pk_mul_f32 v[4:5], v[6:7], v[4:5] op_sel_hi:[0,1]
	v_and_b32_e32 v5, 0x7f800000, v4
	v_cmp_ne_u32_e32 vcc, s64, v5
                                        ; implicit-def: $vgpr23
	s_and_saveexec_b64 s[46:47], vcc
	s_xor_b64 vcc, exec, s[46:47]
; %bb.742:                              ;   in Loop: Header=BB8_728 Depth=2
	v_bfe_u32 v5, v4, 16, 1
	v_add3_u32 v23, v4, v5, s65
                                        ; implicit-def: $vgpr4_vgpr5
; %bb.743:                              ;   in Loop: Header=BB8_728 Depth=2
	s_andn2_saveexec_b64 s[46:47], vcc
; %bb.744:                              ;   in Loop: Header=BB8_728 Depth=2
	v_or_b32_e32 v5, 0x10000, v4
	v_cmp_eq_u32_sdwa vcc, v4, v1 src0_sel:WORD_0 src1_sel:DWORD
	s_nop 1
	v_cndmask_b32_e32 v23, v5, v4, vcc
; %bb.745:                              ;   in Loop: Header=BB8_728 Depth=2
	s_or_b64 exec, exec, s[46:47]
	v_lshlrev_b32_e32 v4, 16, v24
	v_lshlrev_b32_e32 v6, 16, v20
	v_pk_mul_f32 v[4:5], v[4:5], v[6:7] op_sel_hi:[0,1]
	v_and_b32_e32 v5, 0x7f800000, v4
	v_cmp_ne_u32_e32 vcc, s64, v5
                                        ; implicit-def: $vgpr58
	s_and_saveexec_b64 s[46:47], vcc
	s_xor_b64 vcc, exec, s[46:47]
; %bb.746:                              ;   in Loop: Header=BB8_728 Depth=2
	v_bfe_u32 v5, v4, 16, 1
	v_add3_u32 v58, v4, v5, s65
                                        ; implicit-def: $vgpr4_vgpr5
; %bb.747:                              ;   in Loop: Header=BB8_728 Depth=2
	s_andn2_saveexec_b64 s[46:47], vcc
; %bb.748:                              ;   in Loop: Header=BB8_728 Depth=2
	v_or_b32_e32 v5, 0x10000, v4
	v_cmp_eq_u32_sdwa vcc, v4, v1 src0_sel:WORD_0 src1_sel:DWORD
	s_nop 1
	v_cndmask_b32_e32 v58, v5, v4, vcc
; %bb.749:                              ;   in Loop: Header=BB8_728 Depth=2
	s_or_b64 exec, exec, s[46:47]
	v_mov_b32_e32 v4, v20
	v_mov_b32_e32 v5, v24
	v_and_b32_e32 v6, 0xffff0000, v5
	v_and_b32_e32 v4, 0xffff0000, v4
	v_pk_mul_f32 v[4:5], v[6:7], v[4:5] op_sel_hi:[0,1]
	v_and_b32_e32 v5, 0x7f800000, v4
	v_cmp_ne_u32_e32 vcc, s64, v5
                                        ; implicit-def: $vgpr24
	s_and_saveexec_b64 s[46:47], vcc
	s_xor_b64 vcc, exec, s[46:47]
; %bb.750:                              ;   in Loop: Header=BB8_728 Depth=2
	v_bfe_u32 v5, v4, 16, 1
	v_add3_u32 v24, v4, v5, s65
                                        ; implicit-def: $vgpr4_vgpr5
; %bb.751:                              ;   in Loop: Header=BB8_728 Depth=2
	s_andn2_saveexec_b64 s[46:47], vcc
; %bb.752:                              ;   in Loop: Header=BB8_728 Depth=2
	v_or_b32_e32 v5, 0x10000, v4
	v_cmp_eq_u32_sdwa vcc, v4, v1 src0_sel:WORD_0 src1_sel:DWORD
	s_nop 1
	v_cndmask_b32_e32 v24, v5, v4, vcc
; %bb.753:                              ;   in Loop: Header=BB8_728 Depth=2
	s_or_b64 exec, exec, s[46:47]
	v_lshlrev_b32_e32 v4, 16, v25
	v_lshlrev_b32_e32 v6, 16, v21
	v_pk_mul_f32 v[4:5], v[4:5], v[6:7] op_sel_hi:[0,1]
	v_and_b32_e32 v5, 0x7f800000, v4
	v_cmp_ne_u32_e32 vcc, s64, v5
                                        ; implicit-def: $vgpr44
	s_and_saveexec_b64 s[46:47], vcc
	s_xor_b64 vcc, exec, s[46:47]
; %bb.754:                              ;   in Loop: Header=BB8_728 Depth=2
	v_bfe_u32 v5, v4, 16, 1
	v_add3_u32 v44, v4, v5, s65
                                        ; implicit-def: $vgpr4_vgpr5
; %bb.755:                              ;   in Loop: Header=BB8_728 Depth=2
	s_andn2_saveexec_b64 s[46:47], vcc
; %bb.756:                              ;   in Loop: Header=BB8_728 Depth=2
	v_or_b32_e32 v5, 0x10000, v4
	v_cmp_eq_u32_sdwa vcc, v4, v1 src0_sel:WORD_0 src1_sel:DWORD
	s_nop 1
	v_cndmask_b32_e32 v44, v5, v4, vcc
; %bb.757:                              ;   in Loop: Header=BB8_728 Depth=2
	s_or_b64 exec, exec, s[46:47]
	v_mov_b32_e32 v4, v21
	v_and_b32_e32 v6, 0xffff0000, v25
	v_and_b32_e32 v4, 0xffff0000, v4
	v_pk_mul_f32 v[4:5], v[6:7], v[4:5] op_sel_hi:[0,1]
	v_and_b32_e32 v5, 0x7f800000, v4
	v_cmp_ne_u32_e32 vcc, s64, v5
                                        ; implicit-def: $vgpr25
	s_and_saveexec_b64 s[46:47], vcc
	s_xor_b64 vcc, exec, s[46:47]
; %bb.758:                              ;   in Loop: Header=BB8_728 Depth=2
	v_bfe_u32 v5, v4, 16, 1
	v_add3_u32 v25, v4, v5, s65
                                        ; implicit-def: $vgpr4_vgpr5
; %bb.759:                              ;   in Loop: Header=BB8_728 Depth=2
	s_andn2_saveexec_b64 s[46:47], vcc
; %bb.760:                              ;   in Loop: Header=BB8_728 Depth=2
	v_or_b32_e32 v5, 0x10000, v4
	v_cmp_eq_u32_sdwa vcc, v4, v1 src0_sel:WORD_0 src1_sel:DWORD
	s_nop 1
	v_cndmask_b32_e32 v25, v5, v4, vcc
; %bb.761:                              ;   in Loop: Header=BB8_728 Depth=2
	s_or_b64 exec, exec, s[46:47]
	v_lshlrev_b32_e32 v4, 16, v14
	v_lshlrev_b32_e32 v6, 16, v10
	v_pk_mul_f32 v[4:5], v[4:5], v[6:7] op_sel_hi:[0,1]
	v_and_b32_e32 v5, 0x7f800000, v4
	v_cmp_ne_u32_e32 vcc, s64, v5
                                        ; implicit-def: $vgpr45
	s_and_saveexec_b64 s[46:47], vcc
	s_xor_b64 vcc, exec, s[46:47]
; %bb.762:                              ;   in Loop: Header=BB8_728 Depth=2
	v_bfe_u32 v5, v4, 16, 1
	v_add3_u32 v45, v4, v5, s65
                                        ; implicit-def: $vgpr4_vgpr5
; %bb.763:                              ;   in Loop: Header=BB8_728 Depth=2
	s_andn2_saveexec_b64 s[46:47], vcc
; %bb.764:                              ;   in Loop: Header=BB8_728 Depth=2
	v_or_b32_e32 v5, 0x10000, v4
	v_cmp_eq_u32_sdwa vcc, v4, v1 src0_sel:WORD_0 src1_sel:DWORD
	s_nop 1
	v_cndmask_b32_e32 v45, v5, v4, vcc
; %bb.765:                              ;   in Loop: Header=BB8_728 Depth=2
	s_or_b64 exec, exec, s[46:47]
	v_mov_b32_e32 v4, v10
	v_mov_b32_e32 v5, v14
	v_and_b32_e32 v6, 0xffff0000, v5
	v_and_b32_e32 v4, 0xffff0000, v4
	v_pk_mul_f32 v[4:5], v[6:7], v[4:5] op_sel_hi:[0,1]
	v_and_b32_e32 v5, 0x7f800000, v4
	v_cmp_ne_u32_e32 vcc, s64, v5
                                        ; implicit-def: $vgpr14
	s_and_saveexec_b64 s[46:47], vcc
	s_xor_b64 vcc, exec, s[46:47]
; %bb.766:                              ;   in Loop: Header=BB8_728 Depth=2
	v_bfe_u32 v5, v4, 16, 1
	v_add3_u32 v14, v4, v5, s65
                                        ; implicit-def: $vgpr4_vgpr5
; %bb.767:                              ;   in Loop: Header=BB8_728 Depth=2
	s_andn2_saveexec_b64 s[46:47], vcc
; %bb.768:                              ;   in Loop: Header=BB8_728 Depth=2
	v_or_b32_e32 v5, 0x10000, v4
	v_cmp_eq_u32_sdwa vcc, v4, v1 src0_sel:WORD_0 src1_sel:DWORD
	s_nop 1
	v_cndmask_b32_e32 v14, v5, v4, vcc
; %bb.769:                              ;   in Loop: Header=BB8_728 Depth=2
	s_or_b64 exec, exec, s[46:47]
	v_lshlrev_b32_e32 v4, 16, v15
	v_lshlrev_b32_e32 v6, 16, v11
	v_pk_mul_f32 v[4:5], v[4:5], v[6:7] op_sel_hi:[0,1]
	v_and_b32_e32 v5, 0x7f800000, v4
	v_cmp_ne_u32_e32 vcc, s64, v5
                                        ; implicit-def: $vgpr6
	s_and_saveexec_b64 s[46:47], vcc
	s_xor_b64 vcc, exec, s[46:47]
; %bb.770:                              ;   in Loop: Header=BB8_728 Depth=2
	v_bfe_u32 v5, v4, 16, 1
	v_add3_u32 v6, v4, v5, s65
                                        ; implicit-def: $vgpr4_vgpr5
; %bb.771:                              ;   in Loop: Header=BB8_728 Depth=2
	s_andn2_saveexec_b64 s[46:47], vcc
; %bb.772:                              ;   in Loop: Header=BB8_728 Depth=2
	v_or_b32_e32 v5, 0x10000, v4
	v_cmp_eq_u32_sdwa vcc, v4, v1 src0_sel:WORD_0 src1_sel:DWORD
	s_nop 1
	v_cndmask_b32_e32 v6, v5, v4, vcc
; %bb.773:                              ;   in Loop: Header=BB8_728 Depth=2
	s_or_b64 exec, exec, s[46:47]
	v_mov_b32_e32 v4, v11
	v_and_b32_e32 v8, 0xffff0000, v15
	v_and_b32_e32 v4, 0xffff0000, v4
	v_pk_mul_f32 v[4:5], v[8:9], v[4:5] op_sel_hi:[0,1]
	v_and_b32_e32 v5, 0x7f800000, v4
	v_cmp_ne_u32_e32 vcc, s64, v5
                                        ; implicit-def: $vgpr7
	s_and_saveexec_b64 s[46:47], vcc
	s_xor_b64 vcc, exec, s[46:47]
; %bb.774:                              ;   in Loop: Header=BB8_728 Depth=2
	v_bfe_u32 v5, v4, 16, 1
	v_add3_u32 v7, v4, v5, s65
                                        ; implicit-def: $vgpr4_vgpr5
; %bb.775:                              ;   in Loop: Header=BB8_728 Depth=2
	s_andn2_saveexec_b64 s[46:47], vcc
; %bb.776:                              ;   in Loop: Header=BB8_728 Depth=2
	v_or_b32_e32 v5, 0x10000, v4
	v_cmp_eq_u32_sdwa vcc, v4, v1 src0_sel:WORD_0 src1_sel:DWORD
	s_nop 1
	v_cndmask_b32_e32 v7, v5, v4, vcc
; %bb.777:                              ;   in Loop: Header=BB8_728 Depth=2
	s_or_b64 exec, exec, s[46:47]
	v_lshlrev_b32_e32 v4, 16, v16
	v_lshlrev_b32_e32 v8, 16, v12
	v_pk_mul_f32 v[4:5], v[4:5], v[8:9] op_sel_hi:[0,1]
	v_and_b32_e32 v5, 0x7f800000, v4
	v_cmp_ne_u32_e32 vcc, s64, v5
                                        ; implicit-def: $vgpr8
	s_and_saveexec_b64 s[46:47], vcc
	s_xor_b64 vcc, exec, s[46:47]
; %bb.778:                              ;   in Loop: Header=BB8_728 Depth=2
	v_bfe_u32 v5, v4, 16, 1
	v_add3_u32 v8, v4, v5, s65
                                        ; implicit-def: $vgpr4_vgpr5
; %bb.779:                              ;   in Loop: Header=BB8_728 Depth=2
	s_andn2_saveexec_b64 s[46:47], vcc
; %bb.780:                              ;   in Loop: Header=BB8_728 Depth=2
	v_or_b32_e32 v5, 0x10000, v4
	v_cmp_eq_u32_sdwa vcc, v4, v1 src0_sel:WORD_0 src1_sel:DWORD
	s_nop 1
	v_cndmask_b32_e32 v8, v5, v4, vcc
; %bb.781:                              ;   in Loop: Header=BB8_728 Depth=2
	s_or_b64 exec, exec, s[46:47]
	v_mov_b32_e32 v4, v12
	v_mov_b32_e32 v5, v16
	v_and_b32_e32 v16, 0xffff0000, v5
	v_and_b32_e32 v4, 0xffff0000, v4
	v_pk_mul_f32 v[4:5], v[16:17], v[4:5] op_sel_hi:[0,1]
	v_and_b32_e32 v5, 0x7f800000, v4
	v_cmp_ne_u32_e32 vcc, s64, v5
                                        ; implicit-def: $vgpr9
	s_and_saveexec_b64 s[46:47], vcc
	s_xor_b64 vcc, exec, s[46:47]
; %bb.782:                              ;   in Loop: Header=BB8_728 Depth=2
	v_bfe_u32 v5, v4, 16, 1
	v_add3_u32 v9, v4, v5, s65
                                        ; implicit-def: $vgpr4_vgpr5
; %bb.783:                              ;   in Loop: Header=BB8_728 Depth=2
	s_andn2_saveexec_b64 s[46:47], vcc
; %bb.784:                              ;   in Loop: Header=BB8_728 Depth=2
	v_or_b32_e32 v5, 0x10000, v4
	v_cmp_eq_u32_sdwa vcc, v4, v1 src0_sel:WORD_0 src1_sel:DWORD
	s_nop 1
	v_cndmask_b32_e32 v9, v5, v4, vcc
; %bb.785:                              ;   in Loop: Header=BB8_728 Depth=2
	s_or_b64 exec, exec, s[46:47]
	v_lshlrev_b32_e32 v4, 16, v17
	v_lshlrev_b32_e32 v16, 16, v13
	v_pk_mul_f32 v[4:5], v[4:5], v[16:17] op_sel_hi:[0,1]
	v_and_b32_e32 v5, 0x7f800000, v4
	v_cmp_ne_u32_e32 vcc, s64, v5
                                        ; implicit-def: $vgpr52
	s_and_saveexec_b64 s[46:47], vcc
	s_xor_b64 vcc, exec, s[46:47]
; %bb.786:                              ;   in Loop: Header=BB8_728 Depth=2
	v_bfe_u32 v5, v4, 16, 1
	v_add3_u32 v52, v4, v5, s65
                                        ; implicit-def: $vgpr4_vgpr5
; %bb.787:                              ;   in Loop: Header=BB8_728 Depth=2
	s_andn2_saveexec_b64 s[46:47], vcc
; %bb.788:                              ;   in Loop: Header=BB8_728 Depth=2
	v_or_b32_e32 v5, 0x10000, v4
	v_cmp_eq_u32_sdwa vcc, v4, v1 src0_sel:WORD_0 src1_sel:DWORD
	s_nop 1
	v_cndmask_b32_e32 v52, v5, v4, vcc
; %bb.789:                              ;   in Loop: Header=BB8_728 Depth=2
	s_or_b64 exec, exec, s[46:47]
	v_mov_b32_e32 v4, v13
	v_and_b32_e32 v16, 0xffff0000, v17
	v_and_b32_e32 v4, 0xffff0000, v4
	v_pk_mul_f32 v[4:5], v[16:17], v[4:5] op_sel_hi:[0,1]
	v_and_b32_e32 v5, 0x7f800000, v4
	v_cmp_ne_u32_e32 vcc, s64, v5
                                        ; implicit-def: $vgpr17
	s_and_saveexec_b64 s[46:47], vcc
	s_xor_b64 vcc, exec, s[46:47]
; %bb.790:                              ;   in Loop: Header=BB8_728 Depth=2
	v_bfe_u32 v5, v4, 16, 1
	v_add3_u32 v17, v4, v5, s65
                                        ; implicit-def: $vgpr4_vgpr5
; %bb.791:                              ;   in Loop: Header=BB8_728 Depth=2
	s_andn2_saveexec_b64 s[46:47], vcc
; %bb.792:                              ;   in Loop: Header=BB8_728 Depth=2
	v_or_b32_e32 v5, 0x10000, v4
	v_cmp_eq_u32_sdwa vcc, v4, v1 src0_sel:WORD_0 src1_sel:DWORD
	s_nop 1
	v_cndmask_b32_e32 v17, v5, v4, vcc
; %bb.793:                              ;   in Loop: Header=BB8_728 Depth=2
	s_or_b64 exec, exec, s[46:47]
	v_lshrrev_b32_e32 v4, 16, v57
	v_and_or_b32 v23, v23, s67, v4
	v_lshrrev_b32_e32 v4, 16, v56
	v_and_or_b32 v22, v22, s67, v4
	;; [unrolled: 2-line block ×8, first 2 shown]
	v_accvgpr_read_b32 v4, a30
	v_accvgpr_read_b32 v5, a31
	global_store_dwordx4 v[40:41], v[22:25], off nt
	global_store_dwordx4 v[40:41], v[14:17], off offset:1024 nt
	v_lshl_add_u64 v[40:41], v[40:41], 0, v[4:5]
.LBB8_794:                              ;   in Loop: Header=BB8_728 Depth=2
	s_or_b64 exec, exec, s[48:49]
	v_accvgpr_read_b32 v4, a30
	v_accvgpr_read_b32 v5, a31
	v_lshl_add_u64 v[56:57], v[2:3], 0, v[4:5]
	v_accvgpr_read_b32 v2, a24
	v_sub_u32_e32 v0, v0, v2
	v_lshl_add_u64 v[54:55], v[54:55], 0, v[4:5]
	v_cmp_lt_i32_e64 s[46:47], 0, v0
	v_accvgpr_read_b32 v3, a25
	s_and_saveexec_b64 vcc, s[46:47]
	s_cbranch_execz .LBB8_796
; %bb.795:                              ;   in Loop: Header=BB8_728 Depth=2
	global_load_dwordx4 v[22:25], v[56:57], off nt
	global_load_dwordx4 v[14:17], v[56:57], off offset:1024 nt
	global_load_dwordx4 v[18:21], v[54:55], off nt
	global_load_dwordx4 v[10:13], v[54:55], off offset:1024 nt
	v_lshl_add_u64 v[56:57], v[56:57], 0, s[30:31]
	v_lshl_add_u64 v[54:55], v[54:55], 0, s[30:31]
.LBB8_796:                              ;   in Loop: Header=BB8_728 Depth=2
	s_or_b64 exec, exec, vcc
	s_waitcnt vmcnt(0)
	v_lshlrev_b32_e32 v2, 16, v36
	v_lshlrev_b32_e32 v4, 16, v48
	v_pk_mul_f32 v[2:3], v[2:3], v[4:5] op_sel_hi:[0,1]
	v_and_b32_e32 v3, 0x7f800000, v2
	v_cmp_ne_u32_e32 vcc, s64, v3
                                        ; implicit-def: $vgpr58
	s_and_saveexec_b64 s[48:49], vcc
	s_xor_b64 vcc, exec, s[48:49]
; %bb.797:                              ;   in Loop: Header=BB8_728 Depth=2
	v_bfe_u32 v3, v2, 16, 1
	v_add3_u32 v58, v2, v3, s65
                                        ; implicit-def: $vgpr2_vgpr3
; %bb.798:                              ;   in Loop: Header=BB8_728 Depth=2
	s_andn2_saveexec_b64 s[48:49], vcc
; %bb.799:                              ;   in Loop: Header=BB8_728 Depth=2
	v_or_b32_e32 v3, 0x10000, v2
	v_cmp_eq_u32_sdwa vcc, v2, v1 src0_sel:WORD_0 src1_sel:DWORD
	s_nop 1
	v_cndmask_b32_e32 v58, v3, v2, vcc
; %bb.800:                              ;   in Loop: Header=BB8_728 Depth=2
	s_or_b64 exec, exec, s[48:49]
	v_and_b32_e32 v2, 0xffff0000, v36
	v_and_b32_e32 v4, 0xffff0000, v48
	v_pk_mul_f32 v[2:3], v[2:3], v[4:5] op_sel_hi:[0,1]
	v_and_b32_e32 v3, 0x7f800000, v2
	v_cmp_ne_u32_e32 vcc, s64, v3
                                        ; implicit-def: $vgpr36
	s_and_saveexec_b64 s[48:49], vcc
	s_xor_b64 vcc, exec, s[48:49]
; %bb.801:                              ;   in Loop: Header=BB8_728 Depth=2
	v_bfe_u32 v3, v2, 16, 1
	v_add3_u32 v36, v2, v3, s65
                                        ; implicit-def: $vgpr2_vgpr3
; %bb.802:                              ;   in Loop: Header=BB8_728 Depth=2
	s_andn2_saveexec_b64 s[48:49], vcc
; %bb.803:                              ;   in Loop: Header=BB8_728 Depth=2
	v_or_b32_e32 v3, 0x10000, v2
	v_cmp_eq_u32_sdwa vcc, v2, v1 src0_sel:WORD_0 src1_sel:DWORD
	s_nop 1
	v_cndmask_b32_e32 v36, v3, v2, vcc
; %bb.804:                              ;   in Loop: Header=BB8_728 Depth=2
	s_or_b64 exec, exec, s[48:49]
	v_mov_b32_e32 v3, v37
	v_lshlrev_b32_e32 v2, 16, v3
	v_lshlrev_b32_e32 v4, 16, v49
	v_pk_mul_f32 v[4:5], v[2:3], v[4:5] op_sel_hi:[0,1]
	v_and_b32_e32 v2, 0x7f800000, v4
	v_cmp_ne_u32_e32 vcc, s64, v2
                                        ; implicit-def: $vgpr37
	s_and_saveexec_b64 s[48:49], vcc
	s_xor_b64 vcc, exec, s[48:49]
; %bb.805:                              ;   in Loop: Header=BB8_728 Depth=2
	v_bfe_u32 v2, v4, 16, 1
	v_add3_u32 v37, v4, v2, s65
                                        ; implicit-def: $vgpr4_vgpr5
; %bb.806:                              ;   in Loop: Header=BB8_728 Depth=2
	s_andn2_saveexec_b64 s[48:49], vcc
; %bb.807:                              ;   in Loop: Header=BB8_728 Depth=2
	v_or_b32_e32 v2, 0x10000, v4
	v_cmp_eq_u32_sdwa vcc, v4, v1 src0_sel:WORD_0 src1_sel:DWORD
	s_nop 1
	v_cndmask_b32_e32 v37, v2, v4, vcc
; %bb.808:                              ;   in Loop: Header=BB8_728 Depth=2
	s_or_b64 exec, exec, s[48:49]
	v_and_b32_e32 v2, 0xffff0000, v3
	v_and_b32_e32 v4, 0xffff0000, v49
	v_pk_mul_f32 v[2:3], v[2:3], v[4:5] op_sel_hi:[0,1]
	v_and_b32_e32 v3, 0x7f800000, v2
	v_cmp_ne_u32_e32 vcc, s64, v3
                                        ; implicit-def: $vgpr48
	s_and_saveexec_b64 s[48:49], vcc
	s_xor_b64 vcc, exec, s[48:49]
; %bb.809:                              ;   in Loop: Header=BB8_728 Depth=2
	v_bfe_u32 v3, v2, 16, 1
	v_add3_u32 v48, v2, v3, s65
                                        ; implicit-def: $vgpr2_vgpr3
; %bb.810:                              ;   in Loop: Header=BB8_728 Depth=2
	s_andn2_saveexec_b64 s[48:49], vcc
; %bb.811:                              ;   in Loop: Header=BB8_728 Depth=2
	v_or_b32_e32 v3, 0x10000, v2
	v_cmp_eq_u32_sdwa vcc, v2, v1 src0_sel:WORD_0 src1_sel:DWORD
	s_nop 1
	v_cndmask_b32_e32 v48, v3, v2, vcc
; %bb.812:                              ;   in Loop: Header=BB8_728 Depth=2
	s_or_b64 exec, exec, s[48:49]
	v_lshlrev_b32_e32 v2, 16, v38
	v_lshlrev_b32_e32 v4, 16, v50
	v_pk_mul_f32 v[2:3], v[2:3], v[4:5] op_sel_hi:[0,1]
	v_and_b32_e32 v3, 0x7f800000, v2
	v_cmp_ne_u32_e32 vcc, s64, v3
                                        ; implicit-def: $vgpr49
	s_and_saveexec_b64 s[48:49], vcc
	s_xor_b64 vcc, exec, s[48:49]
; %bb.813:                              ;   in Loop: Header=BB8_728 Depth=2
	v_bfe_u32 v3, v2, 16, 1
	v_add3_u32 v49, v2, v3, s65
                                        ; implicit-def: $vgpr2_vgpr3
; %bb.814:                              ;   in Loop: Header=BB8_728 Depth=2
	s_andn2_saveexec_b64 s[48:49], vcc
; %bb.815:                              ;   in Loop: Header=BB8_728 Depth=2
	v_or_b32_e32 v3, 0x10000, v2
	v_cmp_eq_u32_sdwa vcc, v2, v1 src0_sel:WORD_0 src1_sel:DWORD
	s_nop 1
	v_cndmask_b32_e32 v49, v3, v2, vcc
; %bb.816:                              ;   in Loop: Header=BB8_728 Depth=2
	s_or_b64 exec, exec, s[48:49]
	v_and_b32_e32 v2, 0xffff0000, v38
	v_and_b32_e32 v4, 0xffff0000, v50
	v_pk_mul_f32 v[2:3], v[2:3], v[4:5] op_sel_hi:[0,1]
	v_and_b32_e32 v3, 0x7f800000, v2
	v_cmp_ne_u32_e32 vcc, s64, v3
                                        ; implicit-def: $vgpr38
	s_and_saveexec_b64 s[48:49], vcc
	s_xor_b64 vcc, exec, s[48:49]
; %bb.817:                              ;   in Loop: Header=BB8_728 Depth=2
	v_bfe_u32 v3, v2, 16, 1
	v_add3_u32 v38, v2, v3, s65
                                        ; implicit-def: $vgpr2_vgpr3
; %bb.818:                              ;   in Loop: Header=BB8_728 Depth=2
	s_andn2_saveexec_b64 s[48:49], vcc
; %bb.819:                              ;   in Loop: Header=BB8_728 Depth=2
	v_or_b32_e32 v3, 0x10000, v2
	v_cmp_eq_u32_sdwa vcc, v2, v1 src0_sel:WORD_0 src1_sel:DWORD
	s_nop 1
	v_cndmask_b32_e32 v38, v3, v2, vcc
; %bb.820:                              ;   in Loop: Header=BB8_728 Depth=2
	s_or_b64 exec, exec, s[48:49]
	v_mov_b32_e32 v3, v51
	v_lshlrev_b32_e32 v2, 16, v39
	v_lshlrev_b32_e32 v4, 16, v3
	v_pk_mul_f32 v[4:5], v[2:3], v[4:5] op_sel_hi:[0,1]
	v_and_b32_e32 v2, 0x7f800000, v4
	v_cmp_ne_u32_e32 vcc, s64, v2
                                        ; implicit-def: $vgpr50
	s_and_saveexec_b64 s[48:49], vcc
	s_xor_b64 vcc, exec, s[48:49]
; %bb.821:                              ;   in Loop: Header=BB8_728 Depth=2
	v_bfe_u32 v2, v4, 16, 1
	v_add3_u32 v50, v4, v2, s65
                                        ; implicit-def: $vgpr4_vgpr5
; %bb.822:                              ;   in Loop: Header=BB8_728 Depth=2
	s_andn2_saveexec_b64 s[48:49], vcc
; %bb.823:                              ;   in Loop: Header=BB8_728 Depth=2
	v_or_b32_e32 v2, 0x10000, v4
	v_cmp_eq_u32_sdwa vcc, v4, v1 src0_sel:WORD_0 src1_sel:DWORD
	s_nop 1
	v_cndmask_b32_e32 v50, v2, v4, vcc
; %bb.824:                              ;   in Loop: Header=BB8_728 Depth=2
	s_or_b64 exec, exec, s[48:49]
	v_and_b32_e32 v2, 0xffff0000, v39
	v_and_b32_e32 v4, 0xffff0000, v3
	v_pk_mul_f32 v[2:3], v[2:3], v[4:5] op_sel_hi:[0,1]
	v_and_b32_e32 v3, 0x7f800000, v2
	v_cmp_ne_u32_e32 vcc, s64, v3
                                        ; implicit-def: $vgpr39
	s_and_saveexec_b64 s[48:49], vcc
	s_xor_b64 vcc, exec, s[48:49]
; %bb.825:                              ;   in Loop: Header=BB8_728 Depth=2
	v_bfe_u32 v3, v2, 16, 1
	v_add3_u32 v39, v2, v3, s65
                                        ; implicit-def: $vgpr2_vgpr3
; %bb.826:                              ;   in Loop: Header=BB8_728 Depth=2
	s_andn2_saveexec_b64 s[48:49], vcc
; %bb.827:                              ;   in Loop: Header=BB8_728 Depth=2
	v_or_b32_e32 v3, 0x10000, v2
	v_cmp_eq_u32_sdwa vcc, v2, v1 src0_sel:WORD_0 src1_sel:DWORD
	s_nop 1
	v_cndmask_b32_e32 v39, v3, v2, vcc
; %bb.828:                              ;   in Loop: Header=BB8_728 Depth=2
	s_or_b64 exec, exec, s[48:49]
	s_waitcnt vmcnt(0)
	v_lshlrev_b32_e32 v2, 16, v26
	v_lshlrev_b32_e32 v4, 16, v32
	v_pk_mul_f32 v[2:3], v[2:3], v[4:5] op_sel_hi:[0,1]
	v_and_b32_e32 v3, 0x7f800000, v2
	v_cmp_ne_u32_e32 vcc, s64, v3
                                        ; implicit-def: $vgpr51
	s_and_saveexec_b64 s[48:49], vcc
	s_xor_b64 vcc, exec, s[48:49]
; %bb.829:                              ;   in Loop: Header=BB8_728 Depth=2
	v_bfe_u32 v3, v2, 16, 1
	v_add3_u32 v51, v2, v3, s65
                                        ; implicit-def: $vgpr2_vgpr3
; %bb.830:                              ;   in Loop: Header=BB8_728 Depth=2
	s_andn2_saveexec_b64 s[48:49], vcc
; %bb.831:                              ;   in Loop: Header=BB8_728 Depth=2
	v_or_b32_e32 v3, 0x10000, v2
	v_cmp_eq_u32_sdwa vcc, v2, v1 src0_sel:WORD_0 src1_sel:DWORD
	s_nop 1
	v_cndmask_b32_e32 v51, v3, v2, vcc
; %bb.832:                              ;   in Loop: Header=BB8_728 Depth=2
	s_or_b64 exec, exec, s[48:49]
	v_and_b32_e32 v2, 0xffff0000, v26
	v_and_b32_e32 v4, 0xffff0000, v32
	v_pk_mul_f32 v[2:3], v[2:3], v[4:5] op_sel_hi:[0,1]
	v_and_b32_e32 v3, 0x7f800000, v2
	v_cmp_ne_u32_e32 vcc, s64, v3
                                        ; implicit-def: $vgpr26
	s_and_saveexec_b64 s[48:49], vcc
	s_xor_b64 vcc, exec, s[48:49]
; %bb.833:                              ;   in Loop: Header=BB8_728 Depth=2
	v_bfe_u32 v3, v2, 16, 1
	v_add3_u32 v26, v2, v3, s65
                                        ; implicit-def: $vgpr2_vgpr3
; %bb.834:                              ;   in Loop: Header=BB8_728 Depth=2
	s_andn2_saveexec_b64 s[48:49], vcc
; %bb.835:                              ;   in Loop: Header=BB8_728 Depth=2
	v_or_b32_e32 v3, 0x10000, v2
	v_cmp_eq_u32_sdwa vcc, v2, v1 src0_sel:WORD_0 src1_sel:DWORD
	s_nop 1
	v_cndmask_b32_e32 v26, v3, v2, vcc
; %bb.836:                              ;   in Loop: Header=BB8_728 Depth=2
	s_or_b64 exec, exec, s[48:49]
	v_mov_b32_e32 v3, v27
	v_lshlrev_b32_e32 v2, 16, v3
	v_lshlrev_b32_e32 v4, 16, v33
	v_pk_mul_f32 v[4:5], v[2:3], v[4:5] op_sel_hi:[0,1]
	v_and_b32_e32 v2, 0x7f800000, v4
	v_cmp_ne_u32_e32 vcc, s64, v2
                                        ; implicit-def: $vgpr6
	s_and_saveexec_b64 s[48:49], vcc
	s_xor_b64 vcc, exec, s[48:49]
; %bb.837:                              ;   in Loop: Header=BB8_728 Depth=2
	v_bfe_u32 v2, v4, 16, 1
	v_add3_u32 v6, v4, v2, s65
                                        ; implicit-def: $vgpr4_vgpr5
; %bb.838:                              ;   in Loop: Header=BB8_728 Depth=2
	s_andn2_saveexec_b64 s[48:49], vcc
; %bb.839:                              ;   in Loop: Header=BB8_728 Depth=2
	v_or_b32_e32 v2, 0x10000, v4
	v_cmp_eq_u32_sdwa vcc, v4, v1 src0_sel:WORD_0 src1_sel:DWORD
	s_nop 1
	v_cndmask_b32_e32 v6, v2, v4, vcc
; %bb.840:                              ;   in Loop: Header=BB8_728 Depth=2
	s_or_b64 exec, exec, s[48:49]
	v_and_b32_e32 v2, 0xffff0000, v3
	v_and_b32_e32 v4, 0xffff0000, v33
	v_pk_mul_f32 v[2:3], v[2:3], v[4:5] op_sel_hi:[0,1]
	v_and_b32_e32 v3, 0x7f800000, v2
	v_cmp_ne_u32_e32 vcc, s64, v3
                                        ; implicit-def: $vgpr7
	s_and_saveexec_b64 s[48:49], vcc
	s_xor_b64 vcc, exec, s[48:49]
; %bb.841:                              ;   in Loop: Header=BB8_728 Depth=2
	v_bfe_u32 v3, v2, 16, 1
	v_add3_u32 v7, v2, v3, s65
                                        ; implicit-def: $vgpr2_vgpr3
; %bb.842:                              ;   in Loop: Header=BB8_728 Depth=2
	s_andn2_saveexec_b64 s[48:49], vcc
; %bb.843:                              ;   in Loop: Header=BB8_728 Depth=2
	v_or_b32_e32 v3, 0x10000, v2
	v_cmp_eq_u32_sdwa vcc, v2, v1 src0_sel:WORD_0 src1_sel:DWORD
	s_nop 1
	v_cndmask_b32_e32 v7, v3, v2, vcc
; %bb.844:                              ;   in Loop: Header=BB8_728 Depth=2
	s_or_b64 exec, exec, s[48:49]
	v_lshlrev_b32_e32 v2, 16, v28
	v_lshlrev_b32_e32 v4, 16, v34
	v_pk_mul_f32 v[2:3], v[2:3], v[4:5] op_sel_hi:[0,1]
	v_and_b32_e32 v3, 0x7f800000, v2
	v_cmp_ne_u32_e32 vcc, s64, v3
                                        ; implicit-def: $vgpr8
	s_and_saveexec_b64 s[48:49], vcc
	s_xor_b64 vcc, exec, s[48:49]
; %bb.845:                              ;   in Loop: Header=BB8_728 Depth=2
	v_bfe_u32 v3, v2, 16, 1
	v_add3_u32 v8, v2, v3, s65
                                        ; implicit-def: $vgpr2_vgpr3
; %bb.846:                              ;   in Loop: Header=BB8_728 Depth=2
	s_andn2_saveexec_b64 s[48:49], vcc
; %bb.847:                              ;   in Loop: Header=BB8_728 Depth=2
	v_or_b32_e32 v3, 0x10000, v2
	v_cmp_eq_u32_sdwa vcc, v2, v1 src0_sel:WORD_0 src1_sel:DWORD
	s_nop 1
	v_cndmask_b32_e32 v8, v3, v2, vcc
; %bb.848:                              ;   in Loop: Header=BB8_728 Depth=2
	s_or_b64 exec, exec, s[48:49]
	v_and_b32_e32 v2, 0xffff0000, v28
	v_and_b32_e32 v4, 0xffff0000, v34
	v_pk_mul_f32 v[2:3], v[2:3], v[4:5] op_sel_hi:[0,1]
	v_and_b32_e32 v3, 0x7f800000, v2
	v_cmp_ne_u32_e32 vcc, s64, v3
                                        ; implicit-def: $vgpr9
	s_and_saveexec_b64 s[48:49], vcc
	s_xor_b64 vcc, exec, s[48:49]
; %bb.849:                              ;   in Loop: Header=BB8_728 Depth=2
	v_bfe_u32 v3, v2, 16, 1
	v_add3_u32 v9, v2, v3, s65
                                        ; implicit-def: $vgpr2_vgpr3
; %bb.850:                              ;   in Loop: Header=BB8_728 Depth=2
	s_andn2_saveexec_b64 s[48:49], vcc
; %bb.851:                              ;   in Loop: Header=BB8_728 Depth=2
	v_or_b32_e32 v3, 0x10000, v2
	v_cmp_eq_u32_sdwa vcc, v2, v1 src0_sel:WORD_0 src1_sel:DWORD
	s_nop 1
	v_cndmask_b32_e32 v9, v3, v2, vcc
; %bb.852:                              ;   in Loop: Header=BB8_728 Depth=2
	s_or_b64 exec, exec, s[48:49]
	v_mov_b32_e32 v3, v35
	v_lshlrev_b32_e32 v2, 16, v29
	v_lshlrev_b32_e32 v4, 16, v3
	v_pk_mul_f32 v[4:5], v[2:3], v[4:5] op_sel_hi:[0,1]
	v_and_b32_e32 v2, 0x7f800000, v4
	v_cmp_ne_u32_e32 vcc, s64, v2
                                        ; implicit-def: $vgpr27
	s_and_saveexec_b64 s[48:49], vcc
	s_xor_b64 vcc, exec, s[48:49]
; %bb.853:                              ;   in Loop: Header=BB8_728 Depth=2
	v_bfe_u32 v2, v4, 16, 1
	v_add3_u32 v27, v4, v2, s65
                                        ; implicit-def: $vgpr4_vgpr5
; %bb.854:                              ;   in Loop: Header=BB8_728 Depth=2
	s_andn2_saveexec_b64 s[48:49], vcc
; %bb.855:                              ;   in Loop: Header=BB8_728 Depth=2
	v_or_b32_e32 v2, 0x10000, v4
	v_cmp_eq_u32_sdwa vcc, v4, v1 src0_sel:WORD_0 src1_sel:DWORD
	s_nop 1
	v_cndmask_b32_e32 v27, v2, v4, vcc
; %bb.856:                              ;   in Loop: Header=BB8_728 Depth=2
	s_or_b64 exec, exec, s[48:49]
	v_and_b32_e32 v2, 0xffff0000, v29
	v_and_b32_e32 v4, 0xffff0000, v3
	v_pk_mul_f32 v[2:3], v[2:3], v[4:5] op_sel_hi:[0,1]
	v_and_b32_e32 v3, 0x7f800000, v2
	v_cmp_ne_u32_e32 vcc, s64, v3
                                        ; implicit-def: $vgpr4
	s_and_saveexec_b64 s[48:49], vcc
	s_xor_b64 vcc, exec, s[48:49]
; %bb.857:                              ;   in Loop: Header=BB8_728 Depth=2
	v_bfe_u32 v3, v2, 16, 1
	v_add3_u32 v4, v2, v3, s65
                                        ; implicit-def: $vgpr2_vgpr3
; %bb.858:                              ;   in Loop: Header=BB8_728 Depth=2
	s_andn2_saveexec_b64 s[48:49], vcc
	s_cbranch_execz .LBB8_727
; %bb.859:                              ;   in Loop: Header=BB8_728 Depth=2
	v_or_b32_e32 v3, 0x10000, v2
	v_cmp_eq_u32_sdwa vcc, v2, v1 src0_sel:WORD_0 src1_sel:DWORD
	s_nop 1
	v_cndmask_b32_e32 v4, v3, v2, vcc
	s_branch .LBB8_727
.LBB8_860:                              ;   in Loop: Header=BB8_655 Depth=1
	s_or_b64 exec, exec, s[16:17]
	v_accvgpr_read_b32 v51, a15
	v_accvgpr_read_b32 v55, a37
	s_and_b64 s[16:17], s[18:19], exec
	v_accvgpr_read_b32 v50, a14
	v_accvgpr_read_b32 v49, a13
	;; [unrolled: 1-line block ×10, first 2 shown]
.LBB8_861:                              ;   in Loop: Header=BB8_655 Depth=1
	s_or_b64 exec, exec, s[14:15]
	s_and_saveexec_b64 s[14:15], s[16:17]
	s_cbranch_execz .LBB8_927
; %bb.862:                              ;   in Loop: Header=BB8_655 Depth=1
	v_lshlrev_b32_e32 v2, 16, v22
	v_lshlrev_b32_e32 v4, 16, v18
	v_pk_mul_f32 v[2:3], v[2:3], v[4:5] op_sel_hi:[0,1]
	v_and_b32_e32 v3, 0x7f800000, v2
	v_cmp_ne_u32_e32 vcc, s64, v3
                                        ; implicit-def: $vgpr4
	s_and_saveexec_b64 s[16:17], vcc
	s_xor_b64 s[16:17], exec, s[16:17]
; %bb.863:                              ;   in Loop: Header=BB8_655 Depth=1
	v_bfe_u32 v3, v2, 16, 1
	v_add3_u32 v4, v2, v3, s65
                                        ; implicit-def: $vgpr2_vgpr3
; %bb.864:                              ;   in Loop: Header=BB8_655 Depth=1
	s_andn2_saveexec_b64 s[16:17], s[16:17]
; %bb.865:                              ;   in Loop: Header=BB8_655 Depth=1
	v_or_b32_e32 v3, 0x10000, v2
	v_cmp_eq_u32_sdwa vcc, v2, v1 src0_sel:WORD_0 src1_sel:DWORD
	s_nop 1
	v_cndmask_b32_e32 v4, v3, v2, vcc
; %bb.866:                              ;   in Loop: Header=BB8_655 Depth=1
	s_or_b64 exec, exec, s[16:17]
	v_mov_b32_e32 v2, v18
	v_mov_b32_e32 v3, v22
	v_and_b32_e32 v6, 0xffff0000, v3
	v_and_b32_e32 v2, 0xffff0000, v2
	v_pk_mul_f32 v[2:3], v[6:7], v[2:3] op_sel_hi:[0,1]
	v_and_b32_e32 v3, 0x7f800000, v2
	v_cmp_ne_u32_e32 vcc, s64, v3
                                        ; implicit-def: $vgpr5
	s_and_saveexec_b64 s[16:17], vcc
	s_xor_b64 s[16:17], exec, s[16:17]
; %bb.867:                              ;   in Loop: Header=BB8_655 Depth=1
	v_bfe_u32 v3, v2, 16, 1
	v_add3_u32 v5, v2, v3, s65
                                        ; implicit-def: $vgpr2_vgpr3
; %bb.868:                              ;   in Loop: Header=BB8_655 Depth=1
	s_andn2_saveexec_b64 s[16:17], s[16:17]
; %bb.869:                              ;   in Loop: Header=BB8_655 Depth=1
	v_or_b32_e32 v3, 0x10000, v2
	v_cmp_eq_u32_sdwa vcc, v2, v1 src0_sel:WORD_0 src1_sel:DWORD
	s_nop 1
	v_cndmask_b32_e32 v5, v3, v2, vcc
; %bb.870:                              ;   in Loop: Header=BB8_655 Depth=1
	s_or_b64 exec, exec, s[16:17]
	v_lshlrev_b32_e32 v2, 16, v23
	v_lshlrev_b32_e32 v6, 16, v19
	v_pk_mul_f32 v[2:3], v[2:3], v[6:7] op_sel_hi:[0,1]
	v_and_b32_e32 v3, 0x7f800000, v2
	v_cmp_ne_u32_e32 vcc, s64, v3
                                        ; implicit-def: $vgpr18
	s_and_saveexec_b64 s[16:17], vcc
	s_xor_b64 s[16:17], exec, s[16:17]
; %bb.871:                              ;   in Loop: Header=BB8_655 Depth=1
	v_bfe_u32 v3, v2, 16, 1
	v_add3_u32 v18, v2, v3, s65
                                        ; implicit-def: $vgpr2_vgpr3
; %bb.872:                              ;   in Loop: Header=BB8_655 Depth=1
	s_andn2_saveexec_b64 s[16:17], s[16:17]
; %bb.873:                              ;   in Loop: Header=BB8_655 Depth=1
	v_or_b32_e32 v3, 0x10000, v2
	v_cmp_eq_u32_sdwa vcc, v2, v1 src0_sel:WORD_0 src1_sel:DWORD
	s_nop 1
	v_cndmask_b32_e32 v18, v3, v2, vcc
; %bb.874:                              ;   in Loop: Header=BB8_655 Depth=1
	s_or_b64 exec, exec, s[16:17]
	v_mov_b32_e32 v2, v19
	v_and_b32_e32 v6, 0xffff0000, v23
	v_and_b32_e32 v2, 0xffff0000, v2
	v_pk_mul_f32 v[2:3], v[6:7], v[2:3] op_sel_hi:[0,1]
	v_and_b32_e32 v3, 0x7f800000, v2
	v_cmp_ne_u32_e32 vcc, s64, v3
                                        ; implicit-def: $vgpr19
	s_and_saveexec_b64 s[16:17], vcc
	s_xor_b64 s[16:17], exec, s[16:17]
; %bb.875:                              ;   in Loop: Header=BB8_655 Depth=1
	v_bfe_u32 v3, v2, 16, 1
	v_add3_u32 v19, v2, v3, s65
                                        ; implicit-def: $vgpr2_vgpr3
; %bb.876:                              ;   in Loop: Header=BB8_655 Depth=1
	s_andn2_saveexec_b64 s[16:17], s[16:17]
; %bb.877:                              ;   in Loop: Header=BB8_655 Depth=1
	v_or_b32_e32 v3, 0x10000, v2
	v_cmp_eq_u32_sdwa vcc, v2, v1 src0_sel:WORD_0 src1_sel:DWORD
	s_nop 1
	v_cndmask_b32_e32 v19, v3, v2, vcc
; %bb.878:                              ;   in Loop: Header=BB8_655 Depth=1
	s_or_b64 exec, exec, s[16:17]
	v_lshlrev_b32_e32 v2, 16, v24
	v_lshlrev_b32_e32 v6, 16, v20
	v_pk_mul_f32 v[2:3], v[2:3], v[6:7] op_sel_hi:[0,1]
	v_and_b32_e32 v3, 0x7f800000, v2
	v_cmp_ne_u32_e32 vcc, s64, v3
                                        ; implicit-def: $vgpr22
	s_and_saveexec_b64 s[16:17], vcc
	s_xor_b64 s[16:17], exec, s[16:17]
; %bb.879:                              ;   in Loop: Header=BB8_655 Depth=1
	v_bfe_u32 v3, v2, 16, 1
	v_add3_u32 v22, v2, v3, s65
                                        ; implicit-def: $vgpr2_vgpr3
; %bb.880:                              ;   in Loop: Header=BB8_655 Depth=1
	s_andn2_saveexec_b64 s[16:17], s[16:17]
; %bb.881:                              ;   in Loop: Header=BB8_655 Depth=1
	v_or_b32_e32 v3, 0x10000, v2
	v_cmp_eq_u32_sdwa vcc, v2, v1 src0_sel:WORD_0 src1_sel:DWORD
	s_nop 1
	v_cndmask_b32_e32 v22, v3, v2, vcc
; %bb.882:                              ;   in Loop: Header=BB8_655 Depth=1
	s_or_b64 exec, exec, s[16:17]
	v_mov_b32_e32 v2, v20
	v_mov_b32_e32 v3, v24
	v_and_b32_e32 v6, 0xffff0000, v3
	v_and_b32_e32 v2, 0xffff0000, v2
	v_pk_mul_f32 v[2:3], v[6:7], v[2:3] op_sel_hi:[0,1]
	v_and_b32_e32 v3, 0x7f800000, v2
	v_cmp_ne_u32_e32 vcc, s64, v3
                                        ; implicit-def: $vgpr20
	s_and_saveexec_b64 s[16:17], vcc
	s_xor_b64 s[16:17], exec, s[16:17]
; %bb.883:                              ;   in Loop: Header=BB8_655 Depth=1
	v_bfe_u32 v3, v2, 16, 1
	v_add3_u32 v20, v2, v3, s65
                                        ; implicit-def: $vgpr2_vgpr3
; %bb.884:                              ;   in Loop: Header=BB8_655 Depth=1
	s_andn2_saveexec_b64 s[16:17], s[16:17]
; %bb.885:                              ;   in Loop: Header=BB8_655 Depth=1
	v_or_b32_e32 v3, 0x10000, v2
	v_cmp_eq_u32_sdwa vcc, v2, v1 src0_sel:WORD_0 src1_sel:DWORD
	s_nop 1
	v_cndmask_b32_e32 v20, v3, v2, vcc
; %bb.886:                              ;   in Loop: Header=BB8_655 Depth=1
	s_or_b64 exec, exec, s[16:17]
	v_lshlrev_b32_e32 v2, 16, v25
	v_lshlrev_b32_e32 v6, 16, v21
	v_pk_mul_f32 v[2:3], v[2:3], v[6:7] op_sel_hi:[0,1]
	v_and_b32_e32 v3, 0x7f800000, v2
	v_cmp_ne_u32_e32 vcc, s64, v3
                                        ; implicit-def: $vgpr23
	s_and_saveexec_b64 s[16:17], vcc
	s_xor_b64 s[16:17], exec, s[16:17]
; %bb.887:                              ;   in Loop: Header=BB8_655 Depth=1
	v_bfe_u32 v3, v2, 16, 1
	v_add3_u32 v23, v2, v3, s65
                                        ; implicit-def: $vgpr2_vgpr3
; %bb.888:                              ;   in Loop: Header=BB8_655 Depth=1
	s_andn2_saveexec_b64 s[16:17], s[16:17]
; %bb.889:                              ;   in Loop: Header=BB8_655 Depth=1
	v_or_b32_e32 v3, 0x10000, v2
	v_cmp_eq_u32_sdwa vcc, v2, v1 src0_sel:WORD_0 src1_sel:DWORD
	s_nop 1
	v_cndmask_b32_e32 v23, v3, v2, vcc
; %bb.890:                              ;   in Loop: Header=BB8_655 Depth=1
	s_or_b64 exec, exec, s[16:17]
	v_mov_b32_e32 v2, v21
	v_and_b32_e32 v6, 0xffff0000, v25
	v_and_b32_e32 v2, 0xffff0000, v2
	v_pk_mul_f32 v[2:3], v[6:7], v[2:3] op_sel_hi:[0,1]
	v_and_b32_e32 v3, 0x7f800000, v2
	v_cmp_ne_u32_e32 vcc, s64, v3
                                        ; implicit-def: $vgpr21
	s_and_saveexec_b64 s[16:17], vcc
	s_xor_b64 s[16:17], exec, s[16:17]
; %bb.891:                              ;   in Loop: Header=BB8_655 Depth=1
	v_bfe_u32 v3, v2, 16, 1
	v_add3_u32 v21, v2, v3, s65
                                        ; implicit-def: $vgpr2_vgpr3
; %bb.892:                              ;   in Loop: Header=BB8_655 Depth=1
	s_andn2_saveexec_b64 s[16:17], s[16:17]
; %bb.893:                              ;   in Loop: Header=BB8_655 Depth=1
	v_or_b32_e32 v3, 0x10000, v2
	v_cmp_eq_u32_sdwa vcc, v2, v1 src0_sel:WORD_0 src1_sel:DWORD
	s_nop 1
	v_cndmask_b32_e32 v21, v3, v2, vcc
; %bb.894:                              ;   in Loop: Header=BB8_655 Depth=1
	s_or_b64 exec, exec, s[16:17]
	v_lshlrev_b32_e32 v2, 16, v14
	v_lshlrev_b32_e32 v6, 16, v10
	v_pk_mul_f32 v[2:3], v[2:3], v[6:7] op_sel_hi:[0,1]
	v_and_b32_e32 v3, 0x7f800000, v2
	v_cmp_ne_u32_e32 vcc, s64, v3
                                        ; implicit-def: $vgpr24
	s_and_saveexec_b64 s[16:17], vcc
	s_xor_b64 s[16:17], exec, s[16:17]
; %bb.895:                              ;   in Loop: Header=BB8_655 Depth=1
	v_bfe_u32 v3, v2, 16, 1
	v_add3_u32 v24, v2, v3, s65
                                        ; implicit-def: $vgpr2_vgpr3
; %bb.896:                              ;   in Loop: Header=BB8_655 Depth=1
	s_andn2_saveexec_b64 s[16:17], s[16:17]
; %bb.897:                              ;   in Loop: Header=BB8_655 Depth=1
	v_or_b32_e32 v3, 0x10000, v2
	v_cmp_eq_u32_sdwa vcc, v2, v1 src0_sel:WORD_0 src1_sel:DWORD
	s_nop 1
	v_cndmask_b32_e32 v24, v3, v2, vcc
; %bb.898:                              ;   in Loop: Header=BB8_655 Depth=1
	s_or_b64 exec, exec, s[16:17]
	v_mov_b32_e32 v2, v10
	v_mov_b32_e32 v3, v14
	v_and_b32_e32 v6, 0xffff0000, v3
	v_and_b32_e32 v2, 0xffff0000, v2
	v_pk_mul_f32 v[2:3], v[6:7], v[2:3] op_sel_hi:[0,1]
	v_and_b32_e32 v3, 0x7f800000, v2
	v_cmp_ne_u32_e32 vcc, s64, v3
                                        ; implicit-def: $vgpr10
	s_and_saveexec_b64 s[16:17], vcc
	s_xor_b64 s[16:17], exec, s[16:17]
; %bb.899:                              ;   in Loop: Header=BB8_655 Depth=1
	v_bfe_u32 v3, v2, 16, 1
	v_add3_u32 v10, v2, v3, s65
                                        ; implicit-def: $vgpr2_vgpr3
; %bb.900:                              ;   in Loop: Header=BB8_655 Depth=1
	s_andn2_saveexec_b64 s[16:17], s[16:17]
; %bb.901:                              ;   in Loop: Header=BB8_655 Depth=1
	v_or_b32_e32 v3, 0x10000, v2
	v_cmp_eq_u32_sdwa vcc, v2, v1 src0_sel:WORD_0 src1_sel:DWORD
	s_nop 1
	v_cndmask_b32_e32 v10, v3, v2, vcc
; %bb.902:                              ;   in Loop: Header=BB8_655 Depth=1
	s_or_b64 exec, exec, s[16:17]
	v_lshlrev_b32_e32 v2, 16, v15
	v_lshlrev_b32_e32 v6, 16, v11
	v_pk_mul_f32 v[2:3], v[2:3], v[6:7] op_sel_hi:[0,1]
	v_and_b32_e32 v3, 0x7f800000, v2
	v_cmp_ne_u32_e32 vcc, s64, v3
                                        ; implicit-def: $vgpr6
	s_and_saveexec_b64 s[16:17], vcc
	s_xor_b64 s[16:17], exec, s[16:17]
; %bb.903:                              ;   in Loop: Header=BB8_655 Depth=1
	v_bfe_u32 v3, v2, 16, 1
	v_add3_u32 v6, v2, v3, s65
                                        ; implicit-def: $vgpr2_vgpr3
; %bb.904:                              ;   in Loop: Header=BB8_655 Depth=1
	s_andn2_saveexec_b64 s[16:17], s[16:17]
; %bb.905:                              ;   in Loop: Header=BB8_655 Depth=1
	v_or_b32_e32 v3, 0x10000, v2
	v_cmp_eq_u32_sdwa vcc, v2, v1 src0_sel:WORD_0 src1_sel:DWORD
	s_nop 1
	v_cndmask_b32_e32 v6, v3, v2, vcc
; %bb.906:                              ;   in Loop: Header=BB8_655 Depth=1
	s_or_b64 exec, exec, s[16:17]
	v_mov_b32_e32 v2, v11
	v_and_b32_e32 v8, 0xffff0000, v15
	v_and_b32_e32 v2, 0xffff0000, v2
	v_pk_mul_f32 v[2:3], v[8:9], v[2:3] op_sel_hi:[0,1]
	v_and_b32_e32 v3, 0x7f800000, v2
	v_cmp_ne_u32_e32 vcc, s64, v3
                                        ; implicit-def: $vgpr7
	s_and_saveexec_b64 s[16:17], vcc
	s_xor_b64 s[16:17], exec, s[16:17]
; %bb.907:                              ;   in Loop: Header=BB8_655 Depth=1
	v_bfe_u32 v3, v2, 16, 1
	v_add3_u32 v7, v2, v3, s65
                                        ; implicit-def: $vgpr2_vgpr3
; %bb.908:                              ;   in Loop: Header=BB8_655 Depth=1
	s_andn2_saveexec_b64 s[16:17], s[16:17]
; %bb.909:                              ;   in Loop: Header=BB8_655 Depth=1
	v_or_b32_e32 v3, 0x10000, v2
	v_cmp_eq_u32_sdwa vcc, v2, v1 src0_sel:WORD_0 src1_sel:DWORD
	s_nop 1
	v_cndmask_b32_e32 v7, v3, v2, vcc
; %bb.910:                              ;   in Loop: Header=BB8_655 Depth=1
	s_or_b64 exec, exec, s[16:17]
	v_lshlrev_b32_e32 v2, 16, v16
	v_lshlrev_b32_e32 v8, 16, v12
	v_pk_mul_f32 v[2:3], v[2:3], v[8:9] op_sel_hi:[0,1]
	v_and_b32_e32 v3, 0x7f800000, v2
	v_cmp_ne_u32_e32 vcc, s64, v3
                                        ; implicit-def: $vgpr8
	s_and_saveexec_b64 s[16:17], vcc
	s_xor_b64 s[16:17], exec, s[16:17]
; %bb.911:                              ;   in Loop: Header=BB8_655 Depth=1
	v_bfe_u32 v3, v2, 16, 1
	v_add3_u32 v8, v2, v3, s65
                                        ; implicit-def: $vgpr2_vgpr3
; %bb.912:                              ;   in Loop: Header=BB8_655 Depth=1
	s_andn2_saveexec_b64 s[16:17], s[16:17]
; %bb.913:                              ;   in Loop: Header=BB8_655 Depth=1
	v_or_b32_e32 v3, 0x10000, v2
	v_cmp_eq_u32_sdwa vcc, v2, v1 src0_sel:WORD_0 src1_sel:DWORD
	s_nop 1
	v_cndmask_b32_e32 v8, v3, v2, vcc
; %bb.914:                              ;   in Loop: Header=BB8_655 Depth=1
	s_or_b64 exec, exec, s[16:17]
	v_mov_b32_e32 v2, v12
	v_mov_b32_e32 v3, v16
	v_and_b32_e32 v12, 0xffff0000, v3
	v_and_b32_e32 v2, 0xffff0000, v2
	v_pk_mul_f32 v[2:3], v[12:13], v[2:3] op_sel_hi:[0,1]
	v_and_b32_e32 v3, 0x7f800000, v2
	v_cmp_ne_u32_e32 vcc, s64, v3
                                        ; implicit-def: $vgpr9
	s_and_saveexec_b64 s[16:17], vcc
	s_xor_b64 s[16:17], exec, s[16:17]
; %bb.915:                              ;   in Loop: Header=BB8_655 Depth=1
	v_bfe_u32 v3, v2, 16, 1
	v_add3_u32 v9, v2, v3, s65
                                        ; implicit-def: $vgpr2_vgpr3
; %bb.916:                              ;   in Loop: Header=BB8_655 Depth=1
	s_andn2_saveexec_b64 s[16:17], s[16:17]
; %bb.917:                              ;   in Loop: Header=BB8_655 Depth=1
	v_or_b32_e32 v3, 0x10000, v2
	v_cmp_eq_u32_sdwa vcc, v2, v1 src0_sel:WORD_0 src1_sel:DWORD
	s_nop 1
	v_cndmask_b32_e32 v9, v3, v2, vcc
; %bb.918:                              ;   in Loop: Header=BB8_655 Depth=1
	s_or_b64 exec, exec, s[16:17]
	v_lshlrev_b32_e32 v2, 16, v17
	v_lshlrev_b32_e32 v12, 16, v13
	v_pk_mul_f32 v[2:3], v[2:3], v[12:13] op_sel_hi:[0,1]
	v_and_b32_e32 v3, 0x7f800000, v2
	v_cmp_ne_u32_e32 vcc, s64, v3
                                        ; implicit-def: $vgpr11
	s_and_saveexec_b64 s[16:17], vcc
	s_xor_b64 s[16:17], exec, s[16:17]
; %bb.919:                              ;   in Loop: Header=BB8_655 Depth=1
	v_bfe_u32 v3, v2, 16, 1
	v_add3_u32 v11, v2, v3, s65
                                        ; implicit-def: $vgpr2_vgpr3
; %bb.920:                              ;   in Loop: Header=BB8_655 Depth=1
	s_andn2_saveexec_b64 s[16:17], s[16:17]
; %bb.921:                              ;   in Loop: Header=BB8_655 Depth=1
	v_or_b32_e32 v3, 0x10000, v2
	v_cmp_eq_u32_sdwa vcc, v2, v1 src0_sel:WORD_0 src1_sel:DWORD
	s_nop 1
	v_cndmask_b32_e32 v11, v3, v2, vcc
; %bb.922:                              ;   in Loop: Header=BB8_655 Depth=1
	s_or_b64 exec, exec, s[16:17]
	v_mov_b32_e32 v2, v13
	v_and_b32_e32 v12, 0xffff0000, v17
	v_and_b32_e32 v2, 0xffff0000, v2
	v_pk_mul_f32 v[2:3], v[12:13], v[2:3] op_sel_hi:[0,1]
	v_and_b32_e32 v3, 0x7f800000, v2
	v_cmp_ne_u32_e32 vcc, s64, v3
                                        ; implicit-def: $vgpr12
	s_and_saveexec_b64 s[16:17], vcc
	s_xor_b64 s[16:17], exec, s[16:17]
; %bb.923:                              ;   in Loop: Header=BB8_655 Depth=1
	v_bfe_u32 v3, v2, 16, 1
	v_add3_u32 v12, v2, v3, s65
                                        ; implicit-def: $vgpr2_vgpr3
; %bb.924:                              ;   in Loop: Header=BB8_655 Depth=1
	s_andn2_saveexec_b64 s[16:17], s[16:17]
; %bb.925:                              ;   in Loop: Header=BB8_655 Depth=1
	v_or_b32_e32 v3, 0x10000, v2
	v_cmp_eq_u32_sdwa vcc, v2, v1 src0_sel:WORD_0 src1_sel:DWORD
	s_nop 1
	v_cndmask_b32_e32 v12, v3, v2, vcc
; %bb.926:                              ;   in Loop: Header=BB8_655 Depth=1
	s_or_b64 exec, exec, s[16:17]
	v_lshrrev_b32_e32 v2, 16, v18
	v_and_or_b32 v3, v19, s67, v2
	v_lshrrev_b32_e32 v2, 16, v4
	v_and_or_b32 v2, v5, s67, v2
	v_lshrrev_b32_e32 v4, 16, v22
	v_lshrrev_b32_e32 v5, 16, v23
	;; [unrolled: 1-line block ×4, first 2 shown]
	v_and_or_b32 v4, v20, s67, v4
	v_and_or_b32 v5, v21, s67, v5
	;; [unrolled: 1-line block ×3, first 2 shown]
	v_lshrrev_b32_e32 v6, 16, v24
	v_and_or_b32 v8, v9, s67, v8
	v_lshrrev_b32_e32 v9, 16, v11
	v_and_or_b32 v6, v10, s67, v6
	v_and_or_b32 v9, v12, s67, v9
	global_store_dwordx4 v[40:41], v[2:5], off nt
	global_store_dwordx4 v[40:41], v[6:9], off offset:1024 nt
.LBB8_927:                              ;   in Loop: Header=BB8_655 Depth=1
	s_or_b64 exec, exec, s[14:15]
	v_accvgpr_read_b32 v2, a46
	v_lshlrev_b32_e32 v24, 11, v2
	v_accvgpr_read_b32 v2, a43
	v_cmp_ne_u32_e32 vcc, v2, v24
	s_mov_b64 s[14:15], 0
	v_mov_b32_e32 v14, 0
                                        ; implicit-def: $vgpr15
                                        ; implicit-def: $vgpr2
	s_and_saveexec_b64 s[46:47], vcc
	s_cbranch_execz .LBB8_1042
; %bb.928:                              ;   in Loop: Header=BB8_655 Depth=1
	v_lshlrev_b32_e32 v0, 6, v0
	v_accvgpr_read_b32 v2, a43
	v_sub_u32_e32 v0, v37, v0
	v_sub_u32_e32 v3, v2, v24
	v_ashrrev_i32_e32 v2, 31, v0
	v_lshrrev_b32_e32 v2, 26, v2
	v_add_u32_e32 v2, v0, v2
	v_ashrrev_i32_e32 v4, 6, v2
	v_and_b32_e32 v2, 0xffffffc0, v2
	v_sub_u32_e32 v0, v0, v2
	v_lshlrev_b32_e32 v2, 4, v0
	v_lshl_add_u32 v5, v4, 10, v2
	v_mov_b32_e32 v32, v28
	v_add_u32_e32 v2, v5, v24
	v_sub_u32_e32 v28, v3, v5
	v_ashrrev_i32_e32 v5, 31, v3
	v_lshrrev_b32_e32 v5, 22, v5
	v_add_u32_e32 v5, v3, v5
	v_and_b32_e32 v25, 0xfffffc00, v5
	v_sub_u32_e32 v26, v3, v25
	v_ashrrev_i32_e32 v6, 10, v5
	v_cmp_lt_i32_e64 s[14:15], 15, v26
	v_ashrrev_i32_e32 v3, 31, v2
	s_mov_b64 s[18:19], 0
	v_addc_co_u32_e64 v5, vcc, 0, v6, s[14:15]
	v_sub_u32_e32 v27, v5, v4
	v_accvgpr_read_b32 v4, a44
	v_accvgpr_read_b32 v5, a45
	v_lshl_add_u64 v[18:19], v[2:3], 0, v[4:5]
	v_cmp_lt_i32_e32 vcc, 15, v28
	s_and_saveexec_b64 s[48:49], vcc
	s_cbranch_execz .LBB8_1005
; %bb.929:                              ;   in Loop: Header=BB8_655 Depth=1
	s_trap 2
	ds_read_b128 v[4:7], v0
	s_mov_b64 s[54:55], 0
	s_mov_b64 s[50:51], 0
                                        ; implicit-def: $sgpr52_sgpr53
	s_waitcnt lgkmcnt(0)
	v_lshl_add_u64 v[20:21], v[4:5], 0, v[2:3]
	v_lshl_add_u64 v[22:23], v[6:7], 0, v[2:3]
	s_branch .LBB8_931
.LBB8_930:                              ;   in Loop: Header=BB8_931 Depth=2
	s_or_b64 exec, exec, s[16:17]
	v_cmp_gt_i32_e32 vcc, 16, v28
	s_or_b64 s[50:51], vcc, s[50:51]
	s_andn2_b64 s[16:17], s[52:53], exec
	s_and_b64 s[18:19], s[54:55], exec
	s_or_b64 s[52:53], s[16:17], s[18:19]
	s_andn2_b64 exec, exec, s[50:51]
	s_cbranch_execz .LBB8_1004
.LBB8_931:                              ;   Parent Loop BB8_655 Depth=1
                                        ; =>  This Loop Header: Depth=2
                                        ;       Child Loop BB8_932 Depth 3
                                        ;       Child Loop BB8_969 Depth 3
	s_add_i32 s16, s33, 0x90
	v_mov_b32_e32 v2, s16
	s_mov_b64 s[56:57], -1
	s_mov_b64 s[58:59], 0
.LBB8_932:                              ;   Parent Loop BB8_655 Depth=1
                                        ;     Parent Loop BB8_931 Depth=2
                                        ; =>    This Inner Loop Header: Depth=3
	s_cmp_eq_u32 s58, 1
	s_cselect_b64 vcc, -1, 0
	v_cndmask_b32_e32 v9, v21, v23, vcc
	v_cndmask_b32_e32 v8, v20, v22, vcc
	global_load_dwordx4 v[4:7], v[8:9], off nt
	s_cmp_eq_u32 s58, 0
	v_lshl_add_u64 v[8:9], v[8:9], 0, s[34:35]
	s_cselect_b64 s[16:17], -1, 0
	s_and_b64 s[18:19], exec, s[56:57]
	s_mov_b64 s[58:59], 1
	s_mov_b64 s[56:57], 0
	v_cndmask_b32_e64 v21, v21, v9, s[16:17]
	v_cndmask_b32_e64 v20, v20, v8, s[16:17]
	v_cndmask_b32_e32 v23, v23, v9, vcc
	v_cndmask_b32_e32 v22, v22, v8, vcc
	s_mov_b64 vcc, s[18:19]
	s_waitcnt vmcnt(0)
	scratch_store_dwordx4 v2, v[4:7], off
	v_mov_b32_e32 v2, v59
	s_cbranch_vccnz .LBB8_932
; %bb.933:                              ;   in Loop: Header=BB8_931 Depth=2
	s_and_saveexec_b64 s[16:17], s[54:55]
	s_cbranch_execz .LBB8_967
; %bb.934:                              ;   in Loop: Header=BB8_931 Depth=2
	scratch_load_dwordx4 v[10:13], off, s33 offset:192
	scratch_load_dwordx4 v[14:17], off, s33 offset:176
                                        ; implicit-def: $vgpr29
	s_waitcnt vmcnt(1)
	v_lshlrev_b32_e32 v2, 16, v10
	s_waitcnt vmcnt(0)
	v_lshlrev_b32_e32 v4, 16, v14
	v_pk_mul_f32 v[2:3], v[2:3], v[4:5] op_sel_hi:[0,1]
	v_and_b32_e32 v3, 0x7f800000, v2
	v_cmp_ne_u32_e32 vcc, s64, v3
	s_and_saveexec_b64 s[18:19], vcc
	s_xor_b64 s[18:19], exec, s[18:19]
; %bb.935:                              ;   in Loop: Header=BB8_931 Depth=2
	v_bfe_u32 v3, v2, 16, 1
	v_add3_u32 v29, v2, v3, s65
                                        ; implicit-def: $vgpr2_vgpr3
; %bb.936:                              ;   in Loop: Header=BB8_931 Depth=2
	s_andn2_saveexec_b64 s[18:19], s[18:19]
; %bb.937:                              ;   in Loop: Header=BB8_931 Depth=2
	v_or_b32_e32 v3, 0x10000, v2
	v_cmp_eq_u32_sdwa vcc, v2, v1 src0_sel:WORD_0 src1_sel:DWORD
	s_nop 1
	v_cndmask_b32_e32 v29, v3, v2, vcc
; %bb.938:                              ;   in Loop: Header=BB8_931 Depth=2
	s_or_b64 exec, exec, s[18:19]
	v_and_b32_e32 v2, 0xffff0000, v10
	v_and_b32_e32 v4, 0xffff0000, v14
	v_pk_mul_f32 v[2:3], v[2:3], v[4:5] op_sel_hi:[0,1]
	v_and_b32_e32 v3, 0x7f800000, v2
	v_cmp_ne_u32_e32 vcc, s64, v3
                                        ; implicit-def: $vgpr10
	s_and_saveexec_b64 s[18:19], vcc
	s_xor_b64 s[18:19], exec, s[18:19]
; %bb.939:                              ;   in Loop: Header=BB8_931 Depth=2
	v_bfe_u32 v3, v2, 16, 1
	v_add3_u32 v10, v2, v3, s65
                                        ; implicit-def: $vgpr2_vgpr3
; %bb.940:                              ;   in Loop: Header=BB8_931 Depth=2
	s_andn2_saveexec_b64 s[18:19], s[18:19]
; %bb.941:                              ;   in Loop: Header=BB8_931 Depth=2
	v_or_b32_e32 v3, 0x10000, v2
	v_cmp_eq_u32_sdwa vcc, v2, v1 src0_sel:WORD_0 src1_sel:DWORD
	s_nop 1
	v_cndmask_b32_e32 v10, v3, v2, vcc
; %bb.942:                              ;   in Loop: Header=BB8_931 Depth=2
	s_or_b64 exec, exec, s[18:19]
	v_mov_b32_e32 v3, v11
	v_lshlrev_b32_e32 v2, 16, v3
	v_lshlrev_b32_e32 v4, 16, v15
	v_pk_mul_f32 v[4:5], v[2:3], v[4:5] op_sel_hi:[0,1]
	v_and_b32_e32 v2, 0x7f800000, v4
	v_cmp_ne_u32_e32 vcc, s64, v2
                                        ; implicit-def: $vgpr6
	s_and_saveexec_b64 s[18:19], vcc
	s_xor_b64 s[18:19], exec, s[18:19]
; %bb.943:                              ;   in Loop: Header=BB8_931 Depth=2
	v_bfe_u32 v2, v4, 16, 1
	v_add3_u32 v6, v4, v2, s65
                                        ; implicit-def: $vgpr4_vgpr5
; %bb.944:                              ;   in Loop: Header=BB8_931 Depth=2
	s_andn2_saveexec_b64 s[18:19], s[18:19]
; %bb.945:                              ;   in Loop: Header=BB8_931 Depth=2
	v_or_b32_e32 v2, 0x10000, v4
	v_cmp_eq_u32_sdwa vcc, v4, v1 src0_sel:WORD_0 src1_sel:DWORD
	s_nop 1
	v_cndmask_b32_e32 v6, v2, v4, vcc
; %bb.946:                              ;   in Loop: Header=BB8_931 Depth=2
	s_or_b64 exec, exec, s[18:19]
	v_and_b32_e32 v2, 0xffff0000, v3
	v_and_b32_e32 v4, 0xffff0000, v15
	v_pk_mul_f32 v[2:3], v[2:3], v[4:5] op_sel_hi:[0,1]
	v_and_b32_e32 v3, 0x7f800000, v2
	v_cmp_ne_u32_e32 vcc, s64, v3
                                        ; implicit-def: $vgpr7
	s_and_saveexec_b64 s[18:19], vcc
	s_xor_b64 s[18:19], exec, s[18:19]
; %bb.947:                              ;   in Loop: Header=BB8_931 Depth=2
	v_bfe_u32 v3, v2, 16, 1
	v_add3_u32 v7, v2, v3, s65
                                        ; implicit-def: $vgpr2_vgpr3
; %bb.948:                              ;   in Loop: Header=BB8_931 Depth=2
	s_andn2_saveexec_b64 s[18:19], s[18:19]
; %bb.949:                              ;   in Loop: Header=BB8_931 Depth=2
	v_or_b32_e32 v3, 0x10000, v2
	v_cmp_eq_u32_sdwa vcc, v2, v1 src0_sel:WORD_0 src1_sel:DWORD
	s_nop 1
	v_cndmask_b32_e32 v7, v3, v2, vcc
; %bb.950:                              ;   in Loop: Header=BB8_931 Depth=2
	s_or_b64 exec, exec, s[18:19]
	v_lshlrev_b32_e32 v2, 16, v12
	v_lshlrev_b32_e32 v4, 16, v16
	v_pk_mul_f32 v[2:3], v[2:3], v[4:5] op_sel_hi:[0,1]
	v_and_b32_e32 v3, 0x7f800000, v2
	v_cmp_ne_u32_e32 vcc, s64, v3
                                        ; implicit-def: $vgpr8
	s_and_saveexec_b64 s[18:19], vcc
	s_xor_b64 s[18:19], exec, s[18:19]
; %bb.951:                              ;   in Loop: Header=BB8_931 Depth=2
	v_bfe_u32 v3, v2, 16, 1
	v_add3_u32 v8, v2, v3, s65
                                        ; implicit-def: $vgpr2_vgpr3
; %bb.952:                              ;   in Loop: Header=BB8_931 Depth=2
	s_andn2_saveexec_b64 s[18:19], s[18:19]
; %bb.953:                              ;   in Loop: Header=BB8_931 Depth=2
	v_or_b32_e32 v3, 0x10000, v2
	v_cmp_eq_u32_sdwa vcc, v2, v1 src0_sel:WORD_0 src1_sel:DWORD
	s_nop 1
	v_cndmask_b32_e32 v8, v3, v2, vcc
; %bb.954:                              ;   in Loop: Header=BB8_931 Depth=2
	s_or_b64 exec, exec, s[18:19]
	v_and_b32_e32 v2, 0xffff0000, v12
	v_and_b32_e32 v4, 0xffff0000, v16
	v_pk_mul_f32 v[2:3], v[2:3], v[4:5] op_sel_hi:[0,1]
	v_and_b32_e32 v3, 0x7f800000, v2
	v_cmp_ne_u32_e32 vcc, s64, v3
                                        ; implicit-def: $vgpr9
	s_and_saveexec_b64 s[18:19], vcc
	s_xor_b64 s[18:19], exec, s[18:19]
; %bb.955:                              ;   in Loop: Header=BB8_931 Depth=2
	v_bfe_u32 v3, v2, 16, 1
	v_add3_u32 v9, v2, v3, s65
                                        ; implicit-def: $vgpr2_vgpr3
; %bb.956:                              ;   in Loop: Header=BB8_931 Depth=2
	s_andn2_saveexec_b64 s[18:19], s[18:19]
; %bb.957:                              ;   in Loop: Header=BB8_931 Depth=2
	v_or_b32_e32 v3, 0x10000, v2
	v_cmp_eq_u32_sdwa vcc, v2, v1 src0_sel:WORD_0 src1_sel:DWORD
	s_nop 1
	v_cndmask_b32_e32 v9, v3, v2, vcc
; %bb.958:                              ;   in Loop: Header=BB8_931 Depth=2
	s_or_b64 exec, exec, s[18:19]
	v_mov_b32_e32 v3, v17
	v_lshlrev_b32_e32 v2, 16, v13
	v_lshlrev_b32_e32 v4, 16, v3
	v_pk_mul_f32 v[4:5], v[2:3], v[4:5] op_sel_hi:[0,1]
	v_and_b32_e32 v2, 0x7f800000, v4
	v_cmp_ne_u32_e32 vcc, s64, v2
                                        ; implicit-def: $vgpr11
	s_and_saveexec_b64 s[18:19], vcc
	s_xor_b64 s[18:19], exec, s[18:19]
; %bb.959:                              ;   in Loop: Header=BB8_931 Depth=2
	v_bfe_u32 v2, v4, 16, 1
	v_add3_u32 v11, v4, v2, s65
                                        ; implicit-def: $vgpr4_vgpr5
; %bb.960:                              ;   in Loop: Header=BB8_931 Depth=2
	s_andn2_saveexec_b64 s[18:19], s[18:19]
; %bb.961:                              ;   in Loop: Header=BB8_931 Depth=2
	v_or_b32_e32 v2, 0x10000, v4
	v_cmp_eq_u32_sdwa vcc, v4, v1 src0_sel:WORD_0 src1_sel:DWORD
	s_nop 1
	v_cndmask_b32_e32 v11, v2, v4, vcc
; %bb.962:                              ;   in Loop: Header=BB8_931 Depth=2
	s_or_b64 exec, exec, s[18:19]
	v_and_b32_e32 v2, 0xffff0000, v13
	v_and_b32_e32 v4, 0xffff0000, v3
	v_pk_mul_f32 v[2:3], v[2:3], v[4:5] op_sel_hi:[0,1]
	v_and_b32_e32 v3, 0x7f800000, v2
	v_cmp_ne_u32_e32 vcc, s64, v3
                                        ; implicit-def: $vgpr4
	s_and_saveexec_b64 s[18:19], vcc
	s_xor_b64 s[18:19], exec, s[18:19]
; %bb.963:                              ;   in Loop: Header=BB8_931 Depth=2
	v_bfe_u32 v3, v2, 16, 1
	v_add3_u32 v4, v2, v3, s65
                                        ; implicit-def: $vgpr2_vgpr3
; %bb.964:                              ;   in Loop: Header=BB8_931 Depth=2
	s_andn2_saveexec_b64 s[18:19], s[18:19]
; %bb.965:                              ;   in Loop: Header=BB8_931 Depth=2
	v_or_b32_e32 v3, 0x10000, v2
	v_cmp_eq_u32_sdwa vcc, v2, v1 src0_sel:WORD_0 src1_sel:DWORD
	s_nop 1
	v_cndmask_b32_e32 v4, v3, v2, vcc
; %bb.966:                              ;   in Loop: Header=BB8_931 Depth=2
	s_or_b64 exec, exec, s[18:19]
	v_lshrrev_b32_e32 v2, 16, v6
	v_and_or_b32 v7, v7, s67, v2
	v_lshrrev_b32_e32 v2, 16, v29
	v_and_or_b32 v6, v10, s67, v2
	;; [unrolled: 2-line block ×4, first 2 shown]
	scratch_store_dwordx4 off, v[6:9], s33 offset:176
	global_store_dwordx4 v[18:19], v[6:9], off nt
	v_lshl_add_u64 v[18:19], v[60:61], 0, v[18:19]
.LBB8_967:                              ;   in Loop: Header=BB8_931 Depth=2
	s_or_b64 exec, exec, s[16:17]
	v_accvgpr_read_b32 v2, a34
	v_accvgpr_read_b32 v3, a35
	v_sub_u32_e32 v28, v28, v39
	v_lshl_add_u64 v[20:21], v[20:21], 0, v[2:3]
	v_lshl_add_u64 v[22:23], v[22:23], 0, v[2:3]
	v_cmp_lt_i32_e64 s[54:55], 15, v28
	s_and_saveexec_b64 s[56:57], s[54:55]
	s_cbranch_execz .LBB8_970
; %bb.968:                              ;   in Loop: Header=BB8_931 Depth=2
	s_add_i32 s16, s33, 0xb0
	v_mov_b32_e32 v2, s16
	s_mov_b64 s[60:61], 0
	s_mov_b64 s[58:59], -1
.LBB8_969:                              ;   Parent Loop BB8_655 Depth=1
                                        ;     Parent Loop BB8_931 Depth=2
                                        ; =>    This Inner Loop Header: Depth=3
	s_cmp_eq_u32 s60, 1
	s_cselect_b64 vcc, -1, 0
	v_cndmask_b32_e32 v9, v21, v23, vcc
	v_cndmask_b32_e32 v8, v20, v22, vcc
	global_load_dwordx4 v[4:7], v[8:9], off nt
	s_cmp_eq_u32 s60, 0
	v_lshl_add_u64 v[8:9], v[8:9], 0, s[34:35]
	s_cselect_b64 s[16:17], -1, 0
	s_and_b64 s[18:19], exec, s[58:59]
	s_mov_b64 s[60:61], 1
	s_mov_b64 s[58:59], 0
	v_cndmask_b32_e64 v21, v21, v9, s[16:17]
	v_cndmask_b32_e64 v20, v20, v8, s[16:17]
	v_cndmask_b32_e32 v23, v23, v9, vcc
	v_cndmask_b32_e32 v22, v22, v8, vcc
	s_mov_b64 vcc, s[18:19]
	s_waitcnt vmcnt(0)
	scratch_store_dwordx4 v2, v[4:7], off
	v_mov_b32_e32 v2, v38
	s_cbranch_vccnz .LBB8_969
.LBB8_970:                              ;   in Loop: Header=BB8_931 Depth=2
	s_or_b64 exec, exec, s[56:57]
	scratch_load_dwordx4 v[10:13], off, s33 offset:160
	scratch_load_dwordx4 v[14:17], off, s33 offset:144
                                        ; implicit-def: $vgpr29
	s_waitcnt vmcnt(1)
	v_lshlrev_b32_e32 v2, 16, v10
	s_waitcnt vmcnt(0)
	v_lshlrev_b32_e32 v4, 16, v14
	v_pk_mul_f32 v[2:3], v[2:3], v[4:5] op_sel_hi:[0,1]
	v_and_b32_e32 v3, 0x7f800000, v2
	v_cmp_ne_u32_e32 vcc, s64, v3
	s_and_saveexec_b64 s[16:17], vcc
	s_xor_b64 s[16:17], exec, s[16:17]
; %bb.971:                              ;   in Loop: Header=BB8_931 Depth=2
	v_bfe_u32 v3, v2, 16, 1
	v_add3_u32 v29, v2, v3, s65
                                        ; implicit-def: $vgpr2_vgpr3
; %bb.972:                              ;   in Loop: Header=BB8_931 Depth=2
	s_andn2_saveexec_b64 s[16:17], s[16:17]
; %bb.973:                              ;   in Loop: Header=BB8_931 Depth=2
	v_or_b32_e32 v3, 0x10000, v2
	v_cmp_eq_u32_sdwa vcc, v2, v1 src0_sel:WORD_0 src1_sel:DWORD
	s_nop 1
	v_cndmask_b32_e32 v29, v3, v2, vcc
; %bb.974:                              ;   in Loop: Header=BB8_931 Depth=2
	s_or_b64 exec, exec, s[16:17]
	v_and_b32_e32 v2, 0xffff0000, v10
	v_and_b32_e32 v4, 0xffff0000, v14
	v_pk_mul_f32 v[2:3], v[2:3], v[4:5] op_sel_hi:[0,1]
	v_and_b32_e32 v3, 0x7f800000, v2
	v_cmp_ne_u32_e32 vcc, s64, v3
                                        ; implicit-def: $vgpr10
	s_and_saveexec_b64 s[16:17], vcc
	s_xor_b64 s[16:17], exec, s[16:17]
; %bb.975:                              ;   in Loop: Header=BB8_931 Depth=2
	v_bfe_u32 v3, v2, 16, 1
	v_add3_u32 v10, v2, v3, s65
                                        ; implicit-def: $vgpr2_vgpr3
; %bb.976:                              ;   in Loop: Header=BB8_931 Depth=2
	s_andn2_saveexec_b64 s[16:17], s[16:17]
; %bb.977:                              ;   in Loop: Header=BB8_931 Depth=2
	v_or_b32_e32 v3, 0x10000, v2
	v_cmp_eq_u32_sdwa vcc, v2, v1 src0_sel:WORD_0 src1_sel:DWORD
	s_nop 1
	v_cndmask_b32_e32 v10, v3, v2, vcc
; %bb.978:                              ;   in Loop: Header=BB8_931 Depth=2
	s_or_b64 exec, exec, s[16:17]
	v_mov_b32_e32 v3, v11
	v_lshlrev_b32_e32 v2, 16, v3
	v_lshlrev_b32_e32 v4, 16, v15
	v_pk_mul_f32 v[4:5], v[2:3], v[4:5] op_sel_hi:[0,1]
	v_and_b32_e32 v2, 0x7f800000, v4
	v_cmp_ne_u32_e32 vcc, s64, v2
                                        ; implicit-def: $vgpr6
	s_and_saveexec_b64 s[16:17], vcc
	s_xor_b64 s[16:17], exec, s[16:17]
; %bb.979:                              ;   in Loop: Header=BB8_931 Depth=2
	v_bfe_u32 v2, v4, 16, 1
	v_add3_u32 v6, v4, v2, s65
                                        ; implicit-def: $vgpr4_vgpr5
; %bb.980:                              ;   in Loop: Header=BB8_931 Depth=2
	s_andn2_saveexec_b64 s[16:17], s[16:17]
; %bb.981:                              ;   in Loop: Header=BB8_931 Depth=2
	v_or_b32_e32 v2, 0x10000, v4
	v_cmp_eq_u32_sdwa vcc, v4, v1 src0_sel:WORD_0 src1_sel:DWORD
	s_nop 1
	v_cndmask_b32_e32 v6, v2, v4, vcc
; %bb.982:                              ;   in Loop: Header=BB8_931 Depth=2
	s_or_b64 exec, exec, s[16:17]
	v_and_b32_e32 v2, 0xffff0000, v3
	v_and_b32_e32 v4, 0xffff0000, v15
	v_pk_mul_f32 v[2:3], v[2:3], v[4:5] op_sel_hi:[0,1]
	v_and_b32_e32 v3, 0x7f800000, v2
	v_cmp_ne_u32_e32 vcc, s64, v3
                                        ; implicit-def: $vgpr7
	s_and_saveexec_b64 s[16:17], vcc
	s_xor_b64 s[16:17], exec, s[16:17]
; %bb.983:                              ;   in Loop: Header=BB8_931 Depth=2
	v_bfe_u32 v3, v2, 16, 1
	v_add3_u32 v7, v2, v3, s65
                                        ; implicit-def: $vgpr2_vgpr3
; %bb.984:                              ;   in Loop: Header=BB8_931 Depth=2
	s_andn2_saveexec_b64 s[16:17], s[16:17]
; %bb.985:                              ;   in Loop: Header=BB8_931 Depth=2
	v_or_b32_e32 v3, 0x10000, v2
	v_cmp_eq_u32_sdwa vcc, v2, v1 src0_sel:WORD_0 src1_sel:DWORD
	s_nop 1
	v_cndmask_b32_e32 v7, v3, v2, vcc
; %bb.986:                              ;   in Loop: Header=BB8_931 Depth=2
	s_or_b64 exec, exec, s[16:17]
	v_lshlrev_b32_e32 v2, 16, v12
	v_lshlrev_b32_e32 v4, 16, v16
	v_pk_mul_f32 v[2:3], v[2:3], v[4:5] op_sel_hi:[0,1]
	v_and_b32_e32 v3, 0x7f800000, v2
	v_cmp_ne_u32_e32 vcc, s64, v3
                                        ; implicit-def: $vgpr8
	s_and_saveexec_b64 s[16:17], vcc
	s_xor_b64 s[16:17], exec, s[16:17]
; %bb.987:                              ;   in Loop: Header=BB8_931 Depth=2
	v_bfe_u32 v3, v2, 16, 1
	v_add3_u32 v8, v2, v3, s65
                                        ; implicit-def: $vgpr2_vgpr3
; %bb.988:                              ;   in Loop: Header=BB8_931 Depth=2
	s_andn2_saveexec_b64 s[16:17], s[16:17]
; %bb.989:                              ;   in Loop: Header=BB8_931 Depth=2
	v_or_b32_e32 v3, 0x10000, v2
	v_cmp_eq_u32_sdwa vcc, v2, v1 src0_sel:WORD_0 src1_sel:DWORD
	s_nop 1
	v_cndmask_b32_e32 v8, v3, v2, vcc
; %bb.990:                              ;   in Loop: Header=BB8_931 Depth=2
	s_or_b64 exec, exec, s[16:17]
	v_and_b32_e32 v2, 0xffff0000, v12
	v_and_b32_e32 v4, 0xffff0000, v16
	v_pk_mul_f32 v[2:3], v[2:3], v[4:5] op_sel_hi:[0,1]
	v_and_b32_e32 v3, 0x7f800000, v2
	v_cmp_ne_u32_e32 vcc, s64, v3
                                        ; implicit-def: $vgpr9
	s_and_saveexec_b64 s[16:17], vcc
	s_xor_b64 s[16:17], exec, s[16:17]
; %bb.991:                              ;   in Loop: Header=BB8_931 Depth=2
	v_bfe_u32 v3, v2, 16, 1
	v_add3_u32 v9, v2, v3, s65
                                        ; implicit-def: $vgpr2_vgpr3
; %bb.992:                              ;   in Loop: Header=BB8_931 Depth=2
	s_andn2_saveexec_b64 s[16:17], s[16:17]
; %bb.993:                              ;   in Loop: Header=BB8_931 Depth=2
	v_or_b32_e32 v3, 0x10000, v2
	v_cmp_eq_u32_sdwa vcc, v2, v1 src0_sel:WORD_0 src1_sel:DWORD
	s_nop 1
	v_cndmask_b32_e32 v9, v3, v2, vcc
; %bb.994:                              ;   in Loop: Header=BB8_931 Depth=2
	s_or_b64 exec, exec, s[16:17]
	v_mov_b32_e32 v3, v17
	v_lshlrev_b32_e32 v2, 16, v13
	v_lshlrev_b32_e32 v4, 16, v3
	v_pk_mul_f32 v[4:5], v[2:3], v[4:5] op_sel_hi:[0,1]
	v_and_b32_e32 v2, 0x7f800000, v4
	v_cmp_ne_u32_e32 vcc, s64, v2
                                        ; implicit-def: $vgpr11
	s_and_saveexec_b64 s[16:17], vcc
	s_xor_b64 s[16:17], exec, s[16:17]
; %bb.995:                              ;   in Loop: Header=BB8_931 Depth=2
	v_bfe_u32 v2, v4, 16, 1
	v_add3_u32 v11, v4, v2, s65
                                        ; implicit-def: $vgpr4_vgpr5
; %bb.996:                              ;   in Loop: Header=BB8_931 Depth=2
	s_andn2_saveexec_b64 s[16:17], s[16:17]
; %bb.997:                              ;   in Loop: Header=BB8_931 Depth=2
	v_or_b32_e32 v2, 0x10000, v4
	v_cmp_eq_u32_sdwa vcc, v4, v1 src0_sel:WORD_0 src1_sel:DWORD
	s_nop 1
	v_cndmask_b32_e32 v11, v2, v4, vcc
; %bb.998:                              ;   in Loop: Header=BB8_931 Depth=2
	s_or_b64 exec, exec, s[16:17]
	v_and_b32_e32 v2, 0xffff0000, v13
	v_and_b32_e32 v4, 0xffff0000, v3
	v_pk_mul_f32 v[2:3], v[2:3], v[4:5] op_sel_hi:[0,1]
	v_and_b32_e32 v3, 0x7f800000, v2
	v_cmp_ne_u32_e32 vcc, s64, v3
                                        ; implicit-def: $vgpr4
	s_and_saveexec_b64 s[16:17], vcc
	s_xor_b64 s[16:17], exec, s[16:17]
; %bb.999:                              ;   in Loop: Header=BB8_931 Depth=2
	v_bfe_u32 v3, v2, 16, 1
	v_add3_u32 v4, v2, v3, s65
                                        ; implicit-def: $vgpr2_vgpr3
; %bb.1000:                             ;   in Loop: Header=BB8_931 Depth=2
	s_andn2_saveexec_b64 s[16:17], s[16:17]
; %bb.1001:                             ;   in Loop: Header=BB8_931 Depth=2
	v_or_b32_e32 v3, 0x10000, v2
	v_cmp_eq_u32_sdwa vcc, v2, v1 src0_sel:WORD_0 src1_sel:DWORD
	s_nop 1
	v_cndmask_b32_e32 v4, v3, v2, vcc
; %bb.1002:                             ;   in Loop: Header=BB8_931 Depth=2
	s_or_b64 exec, exec, s[16:17]
	v_accvgpr_read_b32 v2, a24
	v_sub_u32_e32 v27, v27, v2
	v_lshrrev_b32_e32 v2, 16, v6
	v_and_or_b32 v7, v7, s67, v2
	v_lshrrev_b32_e32 v2, 16, v29
	v_and_or_b32 v6, v10, s67, v2
	;; [unrolled: 2-line block ×4, first 2 shown]
	scratch_store_dwordx4 off, v[6:9], s33 offset:144
	global_store_dwordx4 v[18:19], v[6:9], off nt
	v_lshl_add_u64 v[18:19], v[18:19], 0, s[34:35]
	v_accvgpr_read_b32 v3, a25
	s_and_saveexec_b64 s[16:17], s[54:55]
	s_cbranch_execz .LBB8_930
; %bb.1003:                             ;   in Loop: Header=BB8_931 Depth=2
	v_accvgpr_read_b32 v2, a34
	v_accvgpr_read_b32 v3, a35
	v_lshl_add_u64 v[20:21], v[20:21], 0, v[2:3]
	v_lshl_add_u64 v[22:23], v[22:23], 0, v[2:3]
	;; [unrolled: 1-line block ×3, first 2 shown]
	v_accvgpr_read_b32 v2, a24
	v_sub_u32_e32 v28, v28, v39
	v_sub_u32_e32 v27, v27, v2
	v_accvgpr_read_b32 v3, a25
	s_branch .LBB8_930
.LBB8_1004:                             ;   in Loop: Header=BB8_655 Depth=1
	s_or_b64 exec, exec, s[50:51]
	s_and_b64 s[18:19], s[52:53], exec
.LBB8_1005:                             ;   in Loop: Header=BB8_655 Depth=1
	s_or_b64 exec, exec, s[48:49]
	s_mov_b64 s[16:17], exec
	s_and_b64 s[18:19], s[16:17], s[18:19]
	v_mov_b32_e32 v28, v32
	s_mov_b64 exec, s[18:19]
	s_cbranch_execz .LBB8_1039
; %bb.1006:                             ;   in Loop: Header=BB8_655 Depth=1
	scratch_load_dwordx4 v[10:13], off, s33 offset:192
	scratch_load_dwordx4 v[14:17], off, s33 offset:176
                                        ; implicit-def: $vgpr20
	s_waitcnt vmcnt(0)
	v_lshlrev_b32_e32 v2, 16, v10
	s_waitcnt vmcnt(0)
	v_lshlrev_b32_e32 v4, 16, v14
	v_pk_mul_f32 v[2:3], v[2:3], v[4:5] op_sel_hi:[0,1]
	v_and_b32_e32 v3, 0x7f800000, v2
	v_cmp_ne_u32_e32 vcc, s64, v3
	s_and_saveexec_b64 s[18:19], vcc
	s_xor_b64 s[18:19], exec, s[18:19]
; %bb.1007:                             ;   in Loop: Header=BB8_655 Depth=1
	v_bfe_u32 v3, v2, 16, 1
	v_add3_u32 v20, v2, v3, s65
                                        ; implicit-def: $vgpr2_vgpr3
; %bb.1008:                             ;   in Loop: Header=BB8_655 Depth=1
	s_andn2_saveexec_b64 s[18:19], s[18:19]
; %bb.1009:                             ;   in Loop: Header=BB8_655 Depth=1
	v_or_b32_e32 v3, 0x10000, v2
	v_cmp_eq_u32_sdwa vcc, v2, v1 src0_sel:WORD_0 src1_sel:DWORD
	s_nop 1
	v_cndmask_b32_e32 v20, v3, v2, vcc
; %bb.1010:                             ;   in Loop: Header=BB8_655 Depth=1
	s_or_b64 exec, exec, s[18:19]
	v_and_b32_e32 v2, 0xffff0000, v10
	v_and_b32_e32 v4, 0xffff0000, v14
	v_pk_mul_f32 v[2:3], v[2:3], v[4:5] op_sel_hi:[0,1]
	v_and_b32_e32 v3, 0x7f800000, v2
	v_cmp_ne_u32_e32 vcc, s64, v3
                                        ; implicit-def: $vgpr10
	s_and_saveexec_b64 s[18:19], vcc
	s_xor_b64 s[18:19], exec, s[18:19]
; %bb.1011:                             ;   in Loop: Header=BB8_655 Depth=1
	v_bfe_u32 v3, v2, 16, 1
	v_add3_u32 v10, v2, v3, s65
                                        ; implicit-def: $vgpr2_vgpr3
; %bb.1012:                             ;   in Loop: Header=BB8_655 Depth=1
	s_andn2_saveexec_b64 s[18:19], s[18:19]
; %bb.1013:                             ;   in Loop: Header=BB8_655 Depth=1
	v_or_b32_e32 v3, 0x10000, v2
	v_cmp_eq_u32_sdwa vcc, v2, v1 src0_sel:WORD_0 src1_sel:DWORD
	s_nop 1
	v_cndmask_b32_e32 v10, v3, v2, vcc
; %bb.1014:                             ;   in Loop: Header=BB8_655 Depth=1
	s_or_b64 exec, exec, s[18:19]
	v_mov_b32_e32 v3, v11
	v_lshlrev_b32_e32 v2, 16, v3
	v_lshlrev_b32_e32 v4, 16, v15
	v_pk_mul_f32 v[4:5], v[2:3], v[4:5] op_sel_hi:[0,1]
	v_and_b32_e32 v2, 0x7f800000, v4
	v_cmp_ne_u32_e32 vcc, s64, v2
                                        ; implicit-def: $vgpr6
	s_and_saveexec_b64 s[18:19], vcc
	s_xor_b64 s[18:19], exec, s[18:19]
; %bb.1015:                             ;   in Loop: Header=BB8_655 Depth=1
	v_bfe_u32 v2, v4, 16, 1
	v_add3_u32 v6, v4, v2, s65
                                        ; implicit-def: $vgpr4_vgpr5
; %bb.1016:                             ;   in Loop: Header=BB8_655 Depth=1
	s_andn2_saveexec_b64 s[18:19], s[18:19]
; %bb.1017:                             ;   in Loop: Header=BB8_655 Depth=1
	v_or_b32_e32 v2, 0x10000, v4
	v_cmp_eq_u32_sdwa vcc, v4, v1 src0_sel:WORD_0 src1_sel:DWORD
	s_nop 1
	v_cndmask_b32_e32 v6, v2, v4, vcc
; %bb.1018:                             ;   in Loop: Header=BB8_655 Depth=1
	s_or_b64 exec, exec, s[18:19]
	v_and_b32_e32 v2, 0xffff0000, v3
	v_and_b32_e32 v4, 0xffff0000, v15
	v_pk_mul_f32 v[2:3], v[2:3], v[4:5] op_sel_hi:[0,1]
	v_and_b32_e32 v3, 0x7f800000, v2
	v_cmp_ne_u32_e32 vcc, s64, v3
                                        ; implicit-def: $vgpr7
	s_and_saveexec_b64 s[18:19], vcc
	s_xor_b64 s[18:19], exec, s[18:19]
; %bb.1019:                             ;   in Loop: Header=BB8_655 Depth=1
	v_bfe_u32 v3, v2, 16, 1
	v_add3_u32 v7, v2, v3, s65
                                        ; implicit-def: $vgpr2_vgpr3
; %bb.1020:                             ;   in Loop: Header=BB8_655 Depth=1
	s_andn2_saveexec_b64 s[18:19], s[18:19]
; %bb.1021:                             ;   in Loop: Header=BB8_655 Depth=1
	v_or_b32_e32 v3, 0x10000, v2
	v_cmp_eq_u32_sdwa vcc, v2, v1 src0_sel:WORD_0 src1_sel:DWORD
	s_nop 1
	v_cndmask_b32_e32 v7, v3, v2, vcc
; %bb.1022:                             ;   in Loop: Header=BB8_655 Depth=1
	s_or_b64 exec, exec, s[18:19]
	v_lshlrev_b32_e32 v2, 16, v12
	v_lshlrev_b32_e32 v4, 16, v16
	v_pk_mul_f32 v[2:3], v[2:3], v[4:5] op_sel_hi:[0,1]
	v_and_b32_e32 v3, 0x7f800000, v2
	v_cmp_ne_u32_e32 vcc, s64, v3
                                        ; implicit-def: $vgpr8
	s_and_saveexec_b64 s[18:19], vcc
	s_xor_b64 s[18:19], exec, s[18:19]
; %bb.1023:                             ;   in Loop: Header=BB8_655 Depth=1
	v_bfe_u32 v3, v2, 16, 1
	v_add3_u32 v8, v2, v3, s65
                                        ; implicit-def: $vgpr2_vgpr3
; %bb.1024:                             ;   in Loop: Header=BB8_655 Depth=1
	s_andn2_saveexec_b64 s[18:19], s[18:19]
; %bb.1025:                             ;   in Loop: Header=BB8_655 Depth=1
	v_or_b32_e32 v3, 0x10000, v2
	v_cmp_eq_u32_sdwa vcc, v2, v1 src0_sel:WORD_0 src1_sel:DWORD
	s_nop 1
	v_cndmask_b32_e32 v8, v3, v2, vcc
; %bb.1026:                             ;   in Loop: Header=BB8_655 Depth=1
	s_or_b64 exec, exec, s[18:19]
	v_and_b32_e32 v2, 0xffff0000, v12
	v_and_b32_e32 v4, 0xffff0000, v16
	v_pk_mul_f32 v[2:3], v[2:3], v[4:5] op_sel_hi:[0,1]
	v_and_b32_e32 v3, 0x7f800000, v2
	v_cmp_ne_u32_e32 vcc, s64, v3
                                        ; implicit-def: $vgpr9
	s_and_saveexec_b64 s[18:19], vcc
	s_xor_b64 s[18:19], exec, s[18:19]
; %bb.1027:                             ;   in Loop: Header=BB8_655 Depth=1
	v_bfe_u32 v3, v2, 16, 1
	v_add3_u32 v9, v2, v3, s65
                                        ; implicit-def: $vgpr2_vgpr3
; %bb.1028:                             ;   in Loop: Header=BB8_655 Depth=1
	s_andn2_saveexec_b64 s[18:19], s[18:19]
; %bb.1029:                             ;   in Loop: Header=BB8_655 Depth=1
	v_or_b32_e32 v3, 0x10000, v2
	v_cmp_eq_u32_sdwa vcc, v2, v1 src0_sel:WORD_0 src1_sel:DWORD
	s_nop 1
	v_cndmask_b32_e32 v9, v3, v2, vcc
; %bb.1030:                             ;   in Loop: Header=BB8_655 Depth=1
	s_or_b64 exec, exec, s[18:19]
	v_mov_b32_e32 v3, v17
	v_lshlrev_b32_e32 v2, 16, v13
	v_lshlrev_b32_e32 v4, 16, v3
	v_pk_mul_f32 v[4:5], v[2:3], v[4:5] op_sel_hi:[0,1]
	v_and_b32_e32 v2, 0x7f800000, v4
	v_cmp_ne_u32_e32 vcc, s64, v2
                                        ; implicit-def: $vgpr11
	s_and_saveexec_b64 s[18:19], vcc
	s_xor_b64 s[18:19], exec, s[18:19]
; %bb.1031:                             ;   in Loop: Header=BB8_655 Depth=1
	v_bfe_u32 v2, v4, 16, 1
	v_add3_u32 v11, v4, v2, s65
                                        ; implicit-def: $vgpr4_vgpr5
; %bb.1032:                             ;   in Loop: Header=BB8_655 Depth=1
	s_andn2_saveexec_b64 s[18:19], s[18:19]
; %bb.1033:                             ;   in Loop: Header=BB8_655 Depth=1
	v_or_b32_e32 v2, 0x10000, v4
	v_cmp_eq_u32_sdwa vcc, v4, v1 src0_sel:WORD_0 src1_sel:DWORD
	s_nop 1
	v_cndmask_b32_e32 v11, v2, v4, vcc
; %bb.1034:                             ;   in Loop: Header=BB8_655 Depth=1
	s_or_b64 exec, exec, s[18:19]
	v_and_b32_e32 v2, 0xffff0000, v13
	v_and_b32_e32 v4, 0xffff0000, v3
	v_pk_mul_f32 v[2:3], v[2:3], v[4:5] op_sel_hi:[0,1]
	v_and_b32_e32 v3, 0x7f800000, v2
	v_cmp_ne_u32_e32 vcc, s64, v3
                                        ; implicit-def: $vgpr4
	s_and_saveexec_b64 s[18:19], vcc
	s_xor_b64 s[18:19], exec, s[18:19]
; %bb.1035:                             ;   in Loop: Header=BB8_655 Depth=1
	v_bfe_u32 v3, v2, 16, 1
	v_add3_u32 v4, v2, v3, s65
                                        ; implicit-def: $vgpr2_vgpr3
; %bb.1036:                             ;   in Loop: Header=BB8_655 Depth=1
	s_andn2_saveexec_b64 s[18:19], s[18:19]
; %bb.1037:                             ;   in Loop: Header=BB8_655 Depth=1
	v_or_b32_e32 v3, 0x10000, v2
	v_cmp_eq_u32_sdwa vcc, v2, v1 src0_sel:WORD_0 src1_sel:DWORD
	s_nop 1
	v_cndmask_b32_e32 v4, v3, v2, vcc
; %bb.1038:                             ;   in Loop: Header=BB8_655 Depth=1
	s_or_b64 exec, exec, s[18:19]
	v_lshrrev_b32_e32 v2, 16, v6
	v_and_or_b32 v7, v7, s67, v2
	v_lshrrev_b32_e32 v2, 16, v20
	v_and_or_b32 v6, v10, s67, v2
	;; [unrolled: 2-line block ×4, first 2 shown]
	global_store_dwordx4 v[18:19], v[6:9], off nt
.LBB8_1039:                             ;   in Loop: Header=BB8_655 Depth=1
	s_or_b64 exec, exec, s[16:17]
	v_accvgpr_read_b32 v2, a43
	v_and_b32_e32 v3, 14, v2
	v_cndmask_b32_e64 v2, v26, v3, s[14:15]
	v_accvgpr_write_b32 a43, v2
	v_cmp_ne_u32_e32 vcc, 0, v2
	s_mov_b64 s[16:17], 0
	v_mov_b32_e32 v14, 0
                                        ; implicit-def: $vgpr15
                                        ; implicit-def: $vgpr2
                                        ; implicit-def: $agpr44_agpr45
	s_and_saveexec_b64 s[18:19], vcc
	s_cbranch_execz .LBB8_1041
; %bb.1040:                             ;   in Loop: Header=BB8_655 Depth=1
	v_sub_u32_e32 v2, v26, v3
	v_cndmask_b32_e64 v2, 0, v2, s[14:15]
	v_add3_u32 v14, v25, v24, v2
	v_cmp_lt_i32_e32 vcc, 0, v27
	v_accvgpr_read_b32 v2, a24
	s_trap 2
	v_cndmask_b32_e32 v2, 0, v2, vcc
	v_sub_u32_e32 v2, v2, v27
	v_lshl_add_u32 v0, v2, 6, v0
	v_ashrrev_i32_e32 v2, 31, v0
	ds_read_b64 a[44:45], v0
	v_accvgpr_read_b32 v3, a25
	v_lshrrev_b32_e32 v2, 26, v2
	v_add_u32_e32 v3, v0, v2
	v_ashrrev_i32_e32 v2, 6, v3
	v_and_b32_e32 v3, 0xffffffc0, v3
	s_mov_b64 s[16:17], exec
	v_sub_u32_e32 v15, v0, v3
.LBB8_1041:                             ;   in Loop: Header=BB8_655 Depth=1
	s_or_b64 exec, exec, s[18:19]
	s_and_b64 s[14:15], s[16:17], exec
.LBB8_1042:                             ;   in Loop: Header=BB8_655 Depth=1
	s_or_b64 exec, exec, s[46:47]
	s_and_saveexec_b64 s[18:19], s[14:15]
	s_cbranch_execz .LBB8_1175
.LBB8_1043:                             ;   in Loop: Header=BB8_655 Depth=1
	v_lshlrev_b32_e32 v0, 10, v2
	v_lshlrev_b32_e32 v3, 1, v15
	v_add3_u32 v4, v14, v3, v0
	v_accvgpr_read_b32 v3, a43
	v_ashrrev_i32_e32 v0, 31, v3
	v_lshrrev_b32_e32 v0, 22, v0
	v_add_u32_e32 v0, v3, v0
	v_ashrrev_i32_e32 v0, 10, v0
	v_sub_u32_e32 v16, v0, v2
	s_waitcnt lgkmcnt(0)
	v_accvgpr_read_b32 v2, a44
	v_ashrrev_i32_e32 v5, 31, v4
	v_accvgpr_read_b32 v3, a45
	v_mov_b32_e32 v58, v28
	v_lshl_add_u64 v[2:3], v[2:3], 0, v[4:5]
	v_cmp_lt_i32_e32 vcc, 0, v16
	s_mov_b64 s[16:17], 0
	v_mov_b32_e32 v35, 0
	v_mov_b32_e32 v32, 0
	;; [unrolled: 1-line block ×16, first 2 shown]
	s_and_saveexec_b64 s[14:15], vcc
	s_cbranch_execz .LBB8_1115
; %bb.1044:                             ;   in Loop: Header=BB8_655 Depth=1
	s_trap 2
	ds_read_b128 v[6:9], v0
	v_accvgpr_write_b32 a12, v48
	v_accvgpr_write_b32 a13, v49
	;; [unrolled: 1-line block ×4, first 2 shown]
	s_mov_b64 s[48:49], 0
	s_waitcnt lgkmcnt(0)
	v_lshl_add_u64 v[10:11], v[6:7], 0, v[4:5]
	v_lshl_add_u64 v[12:13], v[8:9], 0, v[4:5]
	s_mov_b64 s[46:47], 0
                                        ; implicit-def: $sgpr16_sgpr17
                                        ; implicit-def: $vgpr51
                                        ; implicit-def: $vgpr48
                                        ; implicit-def: $vgpr37
                                        ; implicit-def: $vgpr34
                                        ; implicit-def: $vgpr29
                                        ; implicit-def: $vgpr27
                                        ; implicit-def: $vgpr26
                                        ; implicit-def: $vgpr25
                                        ; implicit-def: $vgpr17
                                        ; implicit-def: $vgpr18
                                        ; implicit-def: $vgpr19
                                        ; implicit-def: $vgpr20
                                        ; implicit-def: $vgpr21
                                        ; implicit-def: $vgpr22
                                        ; implicit-def: $vgpr23
                                        ; implicit-def: $vgpr24
	s_branch .LBB8_1046
.LBB8_1045:                             ;   in Loop: Header=BB8_1046 Depth=2
	s_or_b64 exec, exec, s[50:51]
	flat_store_short_d16_hi v[2:3], v44 nt
	flat_store_short_d16_hi v[2:3], v41 offset:128 nt
	flat_store_short_d16_hi v[2:3], v6 offset:256 nt
	;; [unrolled: 1-line block ×7, first 2 shown]
	v_accvgpr_read_b32 v6, a34
	v_accvgpr_read_b32 v7, a35
	v_lshl_add_u64 v[4:5], v[10:11], 0, v[6:7]
	v_cndmask_b32_e64 v11, v11, v5, s[48:49]
	v_cndmask_b32_e64 v10, v10, v4, s[48:49]
	v_accvgpr_read_b32 v4, a24
	v_cndmask_b32_e64 v4, 0, v4, s[48:49]
	v_sub_u32_e32 v16, v16, v4
	v_cmp_gt_i32_e32 vcc, 1, v16
	v_mov_b32_e32 v8, 0x400
	s_or_b64 s[46:47], vcc, s[46:47]
	v_lshl_add_u64 v[6:7], v[12:13], 0, v[6:7]
	v_cndmask_b32_e64 v9, 0, v61, s[48:49]
	v_cndmask_b32_e64 v8, v8, v60, s[48:49]
	s_andn2_b64 s[16:17], s[16:17], exec
	s_and_b64 vcc, s[48:49], exec
	v_lshl_add_u64 v[2:3], v[2:3], 0, v[8:9]
	v_cndmask_b32_e64 v13, v13, v7, s[48:49]
	v_cndmask_b32_e64 v12, v12, v6, s[48:49]
	s_or_b64 s[16:17], s[16:17], vcc
	v_accvgpr_read_b32 v5, a25
	s_andn2_b64 exec, exec, s[46:47]
	s_cbranch_execz .LBB8_1114
.LBB8_1046:                             ;   Parent Loop BB8_655 Depth=1
                                        ; =>  This Inner Loop Header: Depth=2
	flat_load_ushort v4, v[10:11] nt
	flat_load_ushort v41, v[10:11] offset:128 nt
	flat_load_ushort v55, v[10:11] offset:256 nt
	;; [unrolled: 1-line block ×7, first 2 shown]
	flat_load_ushort v5, v[12:13] nt
	flat_load_ushort v56, v[12:13] offset:128 nt
	flat_load_ushort v40, v[12:13] offset:256 nt
	;; [unrolled: 1-line block ×7, first 2 shown]
	s_and_saveexec_b64 s[50:51], s[48:49]
	s_cbranch_execz .LBB8_1080
; %bb.1047:                             ;   in Loop: Header=BB8_1046 Depth=2
	v_lshlrev_b32_e32 v6, 16, v51
	v_lshlrev_b32_e32 v7, 16, v17
	v_mul_f32_e32 v6, v6, v7
	v_and_b32_e32 v7, 0x7f800000, v6
	v_cmp_ne_u32_e32 vcc, s64, v7
                                        ; implicit-def: $vgpr51
	s_and_saveexec_b64 s[48:49], vcc
	s_xor_b64 vcc, exec, s[48:49]
; %bb.1048:                             ;   in Loop: Header=BB8_1046 Depth=2
	v_bfe_u32 v7, v6, 16, 1
	v_add3_u32 v51, v6, v7, s65
                                        ; implicit-def: $vgpr6
; %bb.1049:                             ;   in Loop: Header=BB8_1046 Depth=2
	s_andn2_saveexec_b64 s[48:49], vcc
; %bb.1050:                             ;   in Loop: Header=BB8_1046 Depth=2
	v_or_b32_e32 v7, 0x10000, v6
	v_cmp_eq_u32_sdwa vcc, v6, v1 src0_sel:WORD_0 src1_sel:DWORD
	s_nop 1
	v_cndmask_b32_e32 v51, v7, v6, vcc
; %bb.1051:                             ;   in Loop: Header=BB8_1046 Depth=2
	s_or_b64 exec, exec, s[48:49]
	v_lshlrev_b32_e32 v6, 16, v48
	v_lshlrev_b32_e32 v7, 16, v18
	v_mul_f32_e32 v6, v6, v7
	v_and_b32_e32 v7, 0x7f800000, v6
	v_cmp_ne_u32_e32 vcc, s64, v7
                                        ; implicit-def: $vgpr48
	s_and_saveexec_b64 s[48:49], vcc
	s_xor_b64 vcc, exec, s[48:49]
; %bb.1052:                             ;   in Loop: Header=BB8_1046 Depth=2
	v_bfe_u32 v7, v6, 16, 1
	v_add3_u32 v48, v6, v7, s65
                                        ; implicit-def: $vgpr6
; %bb.1053:                             ;   in Loop: Header=BB8_1046 Depth=2
	s_andn2_saveexec_b64 s[48:49], vcc
; %bb.1054:                             ;   in Loop: Header=BB8_1046 Depth=2
	v_or_b32_e32 v7, 0x10000, v6
	v_cmp_eq_u32_sdwa vcc, v6, v1 src0_sel:WORD_0 src1_sel:DWORD
	s_nop 1
	v_cndmask_b32_e32 v48, v7, v6, vcc
; %bb.1055:                             ;   in Loop: Header=BB8_1046 Depth=2
	s_or_b64 exec, exec, s[48:49]
	v_lshlrev_b32_e32 v6, 16, v37
	v_lshlrev_b32_e32 v7, 16, v19
	v_mul_f32_e32 v7, v6, v7
	v_and_b32_e32 v6, 0x7f800000, v7
	v_cmp_ne_u32_e32 vcc, s64, v6
                                        ; implicit-def: $vgpr6
	s_and_saveexec_b64 s[48:49], vcc
	s_xor_b64 vcc, exec, s[48:49]
; %bb.1056:                             ;   in Loop: Header=BB8_1046 Depth=2
	v_bfe_u32 v6, v7, 16, 1
	v_add3_u32 v6, v7, v6, s65
                                        ; implicit-def: $vgpr7
; %bb.1057:                             ;   in Loop: Header=BB8_1046 Depth=2
	s_andn2_saveexec_b64 s[48:49], vcc
; %bb.1058:                             ;   in Loop: Header=BB8_1046 Depth=2
	v_or_b32_e32 v6, 0x10000, v7
	v_cmp_eq_u32_sdwa vcc, v7, v1 src0_sel:WORD_0 src1_sel:DWORD
	s_nop 1
	v_cndmask_b32_e32 v6, v6, v7, vcc
; %bb.1059:                             ;   in Loop: Header=BB8_1046 Depth=2
	s_or_b64 exec, exec, s[48:49]
	v_lshlrev_b32_e32 v7, 16, v34
	v_lshlrev_b32_e32 v8, 16, v20
	v_mul_f32_e32 v8, v7, v8
	v_and_b32_e32 v7, 0x7f800000, v8
	v_cmp_ne_u32_e32 vcc, s64, v7
                                        ; implicit-def: $vgpr7
	s_and_saveexec_b64 s[48:49], vcc
	s_xor_b64 vcc, exec, s[48:49]
; %bb.1060:                             ;   in Loop: Header=BB8_1046 Depth=2
	v_bfe_u32 v7, v8, 16, 1
	v_add3_u32 v7, v8, v7, s65
                                        ; implicit-def: $vgpr8
; %bb.1061:                             ;   in Loop: Header=BB8_1046 Depth=2
	s_andn2_saveexec_b64 s[48:49], vcc
; %bb.1062:                             ;   in Loop: Header=BB8_1046 Depth=2
	v_or_b32_e32 v7, 0x10000, v8
	v_cmp_eq_u32_sdwa vcc, v8, v1 src0_sel:WORD_0 src1_sel:DWORD
	s_nop 1
	v_cndmask_b32_e32 v7, v7, v8, vcc
; %bb.1063:                             ;   in Loop: Header=BB8_1046 Depth=2
	s_or_b64 exec, exec, s[48:49]
	v_lshlrev_b32_e32 v8, 16, v29
	v_lshlrev_b32_e32 v9, 16, v21
	v_mul_f32_e32 v9, v8, v9
	v_and_b32_e32 v8, 0x7f800000, v9
	v_cmp_ne_u32_e32 vcc, s64, v8
                                        ; implicit-def: $vgpr8
	s_and_saveexec_b64 s[48:49], vcc
	s_xor_b64 vcc, exec, s[48:49]
; %bb.1064:                             ;   in Loop: Header=BB8_1046 Depth=2
	v_bfe_u32 v8, v9, 16, 1
	v_add3_u32 v8, v9, v8, s65
                                        ; implicit-def: $vgpr9
; %bb.1065:                             ;   in Loop: Header=BB8_1046 Depth=2
	s_andn2_saveexec_b64 s[48:49], vcc
; %bb.1066:                             ;   in Loop: Header=BB8_1046 Depth=2
	v_or_b32_e32 v8, 0x10000, v9
	v_cmp_eq_u32_sdwa vcc, v9, v1 src0_sel:WORD_0 src1_sel:DWORD
	s_nop 1
	v_cndmask_b32_e32 v8, v8, v9, vcc
; %bb.1067:                             ;   in Loop: Header=BB8_1046 Depth=2
	s_or_b64 exec, exec, s[48:49]
	v_lshlrev_b32_e32 v9, 16, v27
	v_lshlrev_b32_e32 v27, 16, v22
	v_mul_f32_e32 v27, v9, v27
	v_and_b32_e32 v9, 0x7f800000, v27
	v_cmp_ne_u32_e32 vcc, s64, v9
                                        ; implicit-def: $vgpr9
	s_and_saveexec_b64 s[48:49], vcc
	s_xor_b64 vcc, exec, s[48:49]
; %bb.1068:                             ;   in Loop: Header=BB8_1046 Depth=2
	v_bfe_u32 v9, v27, 16, 1
	v_add3_u32 v9, v27, v9, s65
                                        ; implicit-def: $vgpr27
; %bb.1069:                             ;   in Loop: Header=BB8_1046 Depth=2
	s_andn2_saveexec_b64 s[48:49], vcc
; %bb.1070:                             ;   in Loop: Header=BB8_1046 Depth=2
	v_or_b32_e32 v9, 0x10000, v27
	v_cmp_eq_u32_sdwa vcc, v27, v1 src0_sel:WORD_0 src1_sel:DWORD
	s_nop 1
	v_cndmask_b32_e32 v9, v9, v27, vcc
; %bb.1071:                             ;   in Loop: Header=BB8_1046 Depth=2
	s_or_b64 exec, exec, s[48:49]
	v_lshlrev_b32_e32 v26, 16, v26
	v_lshlrev_b32_e32 v27, 16, v23
	v_mul_f32_e32 v27, v26, v27
	v_and_b32_e32 v26, 0x7f800000, v27
	v_cmp_ne_u32_e32 vcc, s64, v26
                                        ; implicit-def: $vgpr26
	s_and_saveexec_b64 s[48:49], vcc
	s_xor_b64 vcc, exec, s[48:49]
; %bb.1072:                             ;   in Loop: Header=BB8_1046 Depth=2
	v_bfe_u32 v26, v27, 16, 1
	v_add3_u32 v26, v27, v26, s65
                                        ; implicit-def: $vgpr27
; %bb.1073:                             ;   in Loop: Header=BB8_1046 Depth=2
	s_andn2_saveexec_b64 s[48:49], vcc
; %bb.1074:                             ;   in Loop: Header=BB8_1046 Depth=2
	v_or_b32_e32 v26, 0x10000, v27
	v_cmp_eq_u32_sdwa vcc, v27, v1 src0_sel:WORD_0 src1_sel:DWORD
	s_nop 1
	v_cndmask_b32_e32 v26, v26, v27, vcc
; %bb.1075:                             ;   in Loop: Header=BB8_1046 Depth=2
	s_or_b64 exec, exec, s[48:49]
	v_lshlrev_b32_e32 v25, 16, v25
	v_lshlrev_b32_e32 v27, 16, v24
	v_mul_f32_e32 v27, v25, v27
	v_and_b32_e32 v25, 0x7f800000, v27
	v_cmp_ne_u32_e32 vcc, s64, v25
                                        ; implicit-def: $vgpr25
	s_and_saveexec_b64 s[48:49], vcc
	s_xor_b64 vcc, exec, s[48:49]
; %bb.1076:                             ;   in Loop: Header=BB8_1046 Depth=2
	v_bfe_u32 v25, v27, 16, 1
	v_add3_u32 v25, v27, v25, s65
                                        ; implicit-def: $vgpr27
; %bb.1077:                             ;   in Loop: Header=BB8_1046 Depth=2
	s_andn2_saveexec_b64 s[48:49], vcc
; %bb.1078:                             ;   in Loop: Header=BB8_1046 Depth=2
	v_or_b32_e32 v25, 0x10000, v27
	v_cmp_eq_u32_sdwa vcc, v27, v1 src0_sel:WORD_0 src1_sel:DWORD
	s_nop 1
	v_cndmask_b32_e32 v25, v25, v27, vcc
; %bb.1079:                             ;   in Loop: Header=BB8_1046 Depth=2
	s_or_b64 exec, exec, s[48:49]
	v_lshrrev_b32_e32 v51, 16, v51
	v_lshrrev_b32_e32 v26, 16, v26
	;; [unrolled: 1-line block ×8, first 2 shown]
	flat_store_short v[2:3], v51 nt
	flat_store_short v[2:3], v48 offset:128 nt
	flat_store_short v[2:3], v37 offset:256 nt
	;; [unrolled: 1-line block ×7, first 2 shown]
	v_lshl_add_u64 v[2:3], v[2:3], 0, v[60:61]
.LBB8_1080:                             ;   in Loop: Header=BB8_1046 Depth=2
	s_or_b64 exec, exec, s[50:51]
	v_accvgpr_read_b32 v6, a24
	v_sub_u32_e32 v16, v16, v6
	v_lshl_add_u64 v[10:11], v[10:11], 0, v[60:61]
	v_lshl_add_u64 v[12:13], v[12:13], 0, v[60:61]
	v_cmp_lt_i32_e64 s[48:49], 0, v16
	v_accvgpr_read_b32 v7, a25
	s_and_saveexec_b64 vcc, s[48:49]
	s_cbranch_execz .LBB8_1082
; %bb.1081:                             ;   in Loop: Header=BB8_1046 Depth=2
	flat_load_ushort v51, v[10:11] nt
	flat_load_ushort v48, v[10:11] offset:128 nt
	flat_load_ushort v37, v[10:11] offset:256 nt
	;; [unrolled: 1-line block ×7, first 2 shown]
	flat_load_ushort v17, v[12:13] nt
	flat_load_ushort v18, v[12:13] offset:128 nt
	flat_load_ushort v19, v[12:13] offset:256 nt
	;; [unrolled: 1-line block ×7, first 2 shown]
	v_lshl_add_u64 v[10:11], v[10:11], 0, s[34:35]
	v_lshl_add_u64 v[12:13], v[12:13], 0, s[34:35]
.LBB8_1082:                             ;   in Loop: Header=BB8_1046 Depth=2
	s_or_b64 exec, exec, vcc
	s_waitcnt vmcnt(0) lgkmcnt(0)
	v_lshlrev_b32_e32 v6, 16, v5
	v_lshlrev_b32_e32 v4, 16, v4
	v_pk_mul_f32 v[4:5], v[6:7], v[4:5] op_sel_hi:[0,1]
	v_and_b32_e32 v5, 0x7f800000, v4
	v_cmp_ne_u32_e32 vcc, s64, v5
                                        ; implicit-def: $vgpr44
	s_and_saveexec_b64 s[50:51], vcc
	s_xor_b64 vcc, exec, s[50:51]
; %bb.1083:                             ;   in Loop: Header=BB8_1046 Depth=2
	v_bfe_u32 v5, v4, 16, 1
	v_add3_u32 v44, v4, v5, s65
                                        ; implicit-def: $vgpr4_vgpr5
; %bb.1084:                             ;   in Loop: Header=BB8_1046 Depth=2
	s_andn2_saveexec_b64 s[50:51], vcc
; %bb.1085:                             ;   in Loop: Header=BB8_1046 Depth=2
	v_or_b32_e32 v5, 0x10000, v4
	v_cmp_eq_u32_sdwa vcc, v4, v1 src0_sel:WORD_0 src1_sel:DWORD
	s_nop 1
	v_cndmask_b32_e32 v44, v5, v4, vcc
; %bb.1086:                             ;   in Loop: Header=BB8_1046 Depth=2
	s_or_b64 exec, exec, s[50:51]
	v_lshlrev_b32_e32 v4, 16, v56
	v_lshlrev_b32_e32 v6, 16, v41
	v_pk_mul_f32 v[4:5], v[4:5], v[6:7] op_sel_hi:[0,1]
	v_and_b32_e32 v5, 0x7f800000, v4
	v_cmp_ne_u32_e32 vcc, s64, v5
                                        ; implicit-def: $vgpr41
	s_and_saveexec_b64 s[50:51], vcc
	s_xor_b64 vcc, exec, s[50:51]
; %bb.1087:                             ;   in Loop: Header=BB8_1046 Depth=2
	v_bfe_u32 v5, v4, 16, 1
	v_add3_u32 v41, v4, v5, s65
                                        ; implicit-def: $vgpr4_vgpr5
; %bb.1088:                             ;   in Loop: Header=BB8_1046 Depth=2
	s_andn2_saveexec_b64 s[50:51], vcc
; %bb.1089:                             ;   in Loop: Header=BB8_1046 Depth=2
	v_or_b32_e32 v5, 0x10000, v4
	v_cmp_eq_u32_sdwa vcc, v4, v1 src0_sel:WORD_0 src1_sel:DWORD
	s_nop 1
	v_cndmask_b32_e32 v41, v5, v4, vcc
; %bb.1090:                             ;   in Loop: Header=BB8_1046 Depth=2
	s_or_b64 exec, exec, s[50:51]
	v_lshlrev_b32_e32 v4, 16, v40
	v_lshlrev_b32_e32 v6, 16, v55
	v_pk_mul_f32 v[4:5], v[4:5], v[6:7] op_sel_hi:[0,1]
	v_and_b32_e32 v5, 0x7f800000, v4
	v_cmp_ne_u32_e32 vcc, s64, v5
                                        ; implicit-def: $vgpr6
	s_and_saveexec_b64 s[50:51], vcc
	s_xor_b64 vcc, exec, s[50:51]
; %bb.1091:                             ;   in Loop: Header=BB8_1046 Depth=2
	v_bfe_u32 v5, v4, 16, 1
	v_add3_u32 v6, v4, v5, s65
                                        ; implicit-def: $vgpr4_vgpr5
; %bb.1092:                             ;   in Loop: Header=BB8_1046 Depth=2
	s_andn2_saveexec_b64 s[50:51], vcc
; %bb.1093:                             ;   in Loop: Header=BB8_1046 Depth=2
	v_or_b32_e32 v5, 0x10000, v4
	v_cmp_eq_u32_sdwa vcc, v4, v1 src0_sel:WORD_0 src1_sel:DWORD
	s_nop 1
	v_cndmask_b32_e32 v6, v5, v4, vcc
; %bb.1094:                             ;   in Loop: Header=BB8_1046 Depth=2
	s_or_b64 exec, exec, s[50:51]
	v_lshlrev_b32_e32 v4, 16, v54
	v_lshlrev_b32_e32 v8, 16, v50
	v_pk_mul_f32 v[4:5], v[4:5], v[8:9] op_sel_hi:[0,1]
	v_and_b32_e32 v5, 0x7f800000, v4
	v_cmp_ne_u32_e32 vcc, s64, v5
                                        ; implicit-def: $vgpr7
	s_and_saveexec_b64 s[50:51], vcc
	s_xor_b64 vcc, exec, s[50:51]
; %bb.1095:                             ;   in Loop: Header=BB8_1046 Depth=2
	v_bfe_u32 v5, v4, 16, 1
	v_add3_u32 v7, v4, v5, s65
                                        ; implicit-def: $vgpr4_vgpr5
; %bb.1096:                             ;   in Loop: Header=BB8_1046 Depth=2
	s_andn2_saveexec_b64 s[50:51], vcc
; %bb.1097:                             ;   in Loop: Header=BB8_1046 Depth=2
	v_or_b32_e32 v5, 0x10000, v4
	v_cmp_eq_u32_sdwa vcc, v4, v1 src0_sel:WORD_0 src1_sel:DWORD
	s_nop 1
	v_cndmask_b32_e32 v7, v5, v4, vcc
; %bb.1098:                             ;   in Loop: Header=BB8_1046 Depth=2
	s_or_b64 exec, exec, s[50:51]
	v_lshlrev_b32_e32 v4, 16, v49
	v_lshlrev_b32_e32 v8, 16, v39
	v_pk_mul_f32 v[4:5], v[4:5], v[8:9] op_sel_hi:[0,1]
	v_and_b32_e32 v5, 0x7f800000, v4
	v_cmp_ne_u32_e32 vcc, s64, v5
                                        ; implicit-def: $vgpr8
	s_and_saveexec_b64 s[50:51], vcc
	s_xor_b64 vcc, exec, s[50:51]
; %bb.1099:                             ;   in Loop: Header=BB8_1046 Depth=2
	v_bfe_u32 v5, v4, 16, 1
	v_add3_u32 v8, v4, v5, s65
                                        ; implicit-def: $vgpr4_vgpr5
; %bb.1100:                             ;   in Loop: Header=BB8_1046 Depth=2
	s_andn2_saveexec_b64 s[50:51], vcc
; %bb.1101:                             ;   in Loop: Header=BB8_1046 Depth=2
	v_or_b32_e32 v5, 0x10000, v4
	v_cmp_eq_u32_sdwa vcc, v4, v1 src0_sel:WORD_0 src1_sel:DWORD
	s_nop 1
	v_cndmask_b32_e32 v8, v5, v4, vcc
; %bb.1102:                             ;   in Loop: Header=BB8_1046 Depth=2
	s_or_b64 exec, exec, s[50:51]
	v_lshlrev_b32_e32 v4, 16, v38
	v_lshlrev_b32_e32 v36, 16, v36
	v_pk_mul_f32 v[4:5], v[4:5], v[36:37] op_sel_hi:[0,1]
	v_and_b32_e32 v5, 0x7f800000, v4
	v_cmp_ne_u32_e32 vcc, s64, v5
                                        ; implicit-def: $vgpr9
	s_and_saveexec_b64 s[50:51], vcc
	s_xor_b64 vcc, exec, s[50:51]
; %bb.1103:                             ;   in Loop: Header=BB8_1046 Depth=2
	v_bfe_u32 v5, v4, 16, 1
	v_add3_u32 v9, v4, v5, s65
                                        ; implicit-def: $vgpr4_vgpr5
; %bb.1104:                             ;   in Loop: Header=BB8_1046 Depth=2
	s_andn2_saveexec_b64 s[50:51], vcc
; %bb.1105:                             ;   in Loop: Header=BB8_1046 Depth=2
	v_or_b32_e32 v5, 0x10000, v4
	v_cmp_eq_u32_sdwa vcc, v4, v1 src0_sel:WORD_0 src1_sel:DWORD
	s_nop 1
	v_cndmask_b32_e32 v9, v5, v4, vcc
; %bb.1106:                             ;   in Loop: Header=BB8_1046 Depth=2
	s_or_b64 exec, exec, s[50:51]
	v_lshlrev_b32_e32 v4, 16, v35
	v_lshlrev_b32_e32 v36, 16, v33
	v_pk_mul_f32 v[4:5], v[4:5], v[36:37] op_sel_hi:[0,1]
	v_and_b32_e32 v5, 0x7f800000, v4
	v_cmp_ne_u32_e32 vcc, s64, v5
                                        ; implicit-def: $vgpr33
	s_and_saveexec_b64 s[50:51], vcc
	s_xor_b64 vcc, exec, s[50:51]
; %bb.1107:                             ;   in Loop: Header=BB8_1046 Depth=2
	v_bfe_u32 v5, v4, 16, 1
	v_add3_u32 v33, v4, v5, s65
                                        ; implicit-def: $vgpr4_vgpr5
; %bb.1108:                             ;   in Loop: Header=BB8_1046 Depth=2
	s_andn2_saveexec_b64 s[50:51], vcc
; %bb.1109:                             ;   in Loop: Header=BB8_1046 Depth=2
	v_or_b32_e32 v5, 0x10000, v4
	v_cmp_eq_u32_sdwa vcc, v4, v1 src0_sel:WORD_0 src1_sel:DWORD
	s_nop 1
	v_cndmask_b32_e32 v33, v5, v4, vcc
; %bb.1110:                             ;   in Loop: Header=BB8_1046 Depth=2
	s_or_b64 exec, exec, s[50:51]
	v_lshlrev_b32_e32 v4, 16, v32
	v_lshlrev_b32_e32 v28, 16, v28
	v_pk_mul_f32 v[4:5], v[4:5], v[28:29] op_sel_hi:[0,1]
	v_and_b32_e32 v5, 0x7f800000, v4
	v_cmp_ne_u32_e32 vcc, s64, v5
                                        ; implicit-def: $vgpr28
	s_and_saveexec_b64 s[50:51], vcc
	s_xor_b64 vcc, exec, s[50:51]
; %bb.1111:                             ;   in Loop: Header=BB8_1046 Depth=2
	v_bfe_u32 v5, v4, 16, 1
	v_add3_u32 v28, v4, v5, s65
                                        ; implicit-def: $vgpr4_vgpr5
; %bb.1112:                             ;   in Loop: Header=BB8_1046 Depth=2
	s_andn2_saveexec_b64 s[50:51], vcc
	s_cbranch_execz .LBB8_1045
; %bb.1113:                             ;   in Loop: Header=BB8_1046 Depth=2
	v_or_b32_e32 v5, 0x10000, v4
	v_cmp_eq_u32_sdwa vcc, v4, v1 src0_sel:WORD_0 src1_sel:DWORD
	s_nop 1
	v_cndmask_b32_e32 v28, v5, v4, vcc
	s_branch .LBB8_1045
.LBB8_1114:                             ;   in Loop: Header=BB8_655 Depth=1
	s_or_b64 exec, exec, s[46:47]
	v_lshlrev_b32_e32 v35, 16, v51
	v_lshlrev_b32_e32 v32, 16, v48
	v_accvgpr_read_b32 v51, a15
	v_accvgpr_read_b32 v55, a37
	v_lshlrev_b32_e32 v36, 16, v17
	v_lshlrev_b32_e32 v33, 16, v18
	v_lshlrev_b32_e32 v8, 16, v37
	v_lshlrev_b32_e32 v28, 16, v19
	v_lshlrev_b32_e32 v9, 16, v34
	v_lshlrev_b32_e32 v19, 16, v20
	v_lshlrev_b32_e32 v6, 16, v29
	v_lshlrev_b32_e32 v7, 16, v21
	v_lshlrev_b32_e32 v17, 16, v27
	v_lshlrev_b32_e32 v18, 16, v22
	v_lshlrev_b32_e32 v12, 16, v26
	v_lshlrev_b32_e32 v13, 16, v23
	v_lshlrev_b32_e32 v10, 16, v25
	v_lshlrev_b32_e32 v11, 16, v24
	s_and_b64 s[16:17], s[16:17], exec
	v_accvgpr_read_b32 v50, a14
	v_accvgpr_read_b32 v49, a13
	;; [unrolled: 1-line block ×9, first 2 shown]
.LBB8_1115:                             ;   in Loop: Header=BB8_655 Depth=1
	s_or_b64 exec, exec, s[14:15]
	s_and_saveexec_b64 s[14:15], s[16:17]
	s_cbranch_execz .LBB8_1149
; %bb.1116:                             ;   in Loop: Header=BB8_655 Depth=1
	v_mul_f32_e32 v5, v36, v35
	v_and_b32_e32 v4, 0x7f800000, v5
	v_cmp_ne_u32_e32 vcc, s64, v4
                                        ; implicit-def: $vgpr4
	s_and_saveexec_b64 s[16:17], vcc
	s_xor_b64 s[16:17], exec, s[16:17]
; %bb.1117:                             ;   in Loop: Header=BB8_655 Depth=1
	v_bfe_u32 v4, v5, 16, 1
	v_add3_u32 v4, v5, v4, s65
                                        ; implicit-def: $vgpr5
; %bb.1118:                             ;   in Loop: Header=BB8_655 Depth=1
	s_andn2_saveexec_b64 s[16:17], s[16:17]
; %bb.1119:                             ;   in Loop: Header=BB8_655 Depth=1
	v_or_b32_e32 v4, 0x10000, v5
	v_cmp_eq_u32_sdwa vcc, v5, v1 src0_sel:WORD_0 src1_sel:DWORD
	s_nop 1
	v_cndmask_b32_e32 v4, v4, v5, vcc
; %bb.1120:                             ;   in Loop: Header=BB8_655 Depth=1
	s_or_b64 exec, exec, s[16:17]
	v_mul_f32_e32 v20, v33, v32
	v_and_b32_e32 v5, 0x7f800000, v20
	v_cmp_ne_u32_e32 vcc, s64, v5
                                        ; implicit-def: $vgpr5
	s_and_saveexec_b64 s[16:17], vcc
	s_xor_b64 s[16:17], exec, s[16:17]
; %bb.1121:                             ;   in Loop: Header=BB8_655 Depth=1
	v_bfe_u32 v5, v20, 16, 1
	v_add3_u32 v5, v20, v5, s65
                                        ; implicit-def: $vgpr20
; %bb.1122:                             ;   in Loop: Header=BB8_655 Depth=1
	s_andn2_saveexec_b64 s[16:17], s[16:17]
; %bb.1123:                             ;   in Loop: Header=BB8_655 Depth=1
	v_or_b32_e32 v5, 0x10000, v20
	v_cmp_eq_u32_sdwa vcc, v20, v1 src0_sel:WORD_0 src1_sel:DWORD
	s_nop 1
	v_cndmask_b32_e32 v5, v5, v20, vcc
; %bb.1124:                             ;   in Loop: Header=BB8_655 Depth=1
	s_or_b64 exec, exec, s[16:17]
	v_mul_f32_e32 v20, v28, v8
	v_and_b32_e32 v8, 0x7f800000, v20
	v_cmp_ne_u32_e32 vcc, s64, v8
                                        ; implicit-def: $vgpr8
	s_and_saveexec_b64 s[16:17], vcc
	s_xor_b64 s[16:17], exec, s[16:17]
; %bb.1125:                             ;   in Loop: Header=BB8_655 Depth=1
	v_bfe_u32 v8, v20, 16, 1
	v_add3_u32 v8, v20, v8, s65
                                        ; implicit-def: $vgpr20
; %bb.1126:                             ;   in Loop: Header=BB8_655 Depth=1
	s_andn2_saveexec_b64 s[16:17], s[16:17]
; %bb.1127:                             ;   in Loop: Header=BB8_655 Depth=1
	v_or_b32_e32 v8, 0x10000, v20
	v_cmp_eq_u32_sdwa vcc, v20, v1 src0_sel:WORD_0 src1_sel:DWORD
	s_nop 1
	v_cndmask_b32_e32 v8, v8, v20, vcc
; %bb.1128:                             ;   in Loop: Header=BB8_655 Depth=1
	s_or_b64 exec, exec, s[16:17]
	v_mul_f32_e32 v19, v19, v9
	v_and_b32_e32 v9, 0x7f800000, v19
	v_cmp_ne_u32_e32 vcc, s64, v9
                                        ; implicit-def: $vgpr9
	s_and_saveexec_b64 s[16:17], vcc
	s_xor_b64 s[16:17], exec, s[16:17]
; %bb.1129:                             ;   in Loop: Header=BB8_655 Depth=1
	v_bfe_u32 v9, v19, 16, 1
	v_add3_u32 v9, v19, v9, s65
                                        ; implicit-def: $vgpr19
; %bb.1130:                             ;   in Loop: Header=BB8_655 Depth=1
	s_andn2_saveexec_b64 s[16:17], s[16:17]
; %bb.1131:                             ;   in Loop: Header=BB8_655 Depth=1
	v_or_b32_e32 v9, 0x10000, v19
	v_cmp_eq_u32_sdwa vcc, v19, v1 src0_sel:WORD_0 src1_sel:DWORD
	s_nop 1
	v_cndmask_b32_e32 v9, v9, v19, vcc
; %bb.1132:                             ;   in Loop: Header=BB8_655 Depth=1
	s_or_b64 exec, exec, s[16:17]
	v_mul_f32_e32 v7, v7, v6
	v_and_b32_e32 v6, 0x7f800000, v7
	v_cmp_ne_u32_e32 vcc, s64, v6
                                        ; implicit-def: $vgpr6
	s_and_saveexec_b64 s[16:17], vcc
	s_xor_b64 s[16:17], exec, s[16:17]
; %bb.1133:                             ;   in Loop: Header=BB8_655 Depth=1
	v_bfe_u32 v6, v7, 16, 1
	v_add3_u32 v6, v7, v6, s65
                                        ; implicit-def: $vgpr7
; %bb.1134:                             ;   in Loop: Header=BB8_655 Depth=1
	s_andn2_saveexec_b64 s[16:17], s[16:17]
; %bb.1135:                             ;   in Loop: Header=BB8_655 Depth=1
	v_or_b32_e32 v6, 0x10000, v7
	v_cmp_eq_u32_sdwa vcc, v7, v1 src0_sel:WORD_0 src1_sel:DWORD
	s_nop 1
	v_cndmask_b32_e32 v6, v6, v7, vcc
; %bb.1136:                             ;   in Loop: Header=BB8_655 Depth=1
	s_or_b64 exec, exec, s[16:17]
	v_mul_f32_e32 v17, v18, v17
	v_and_b32_e32 v7, 0x7f800000, v17
	v_cmp_ne_u32_e32 vcc, s64, v7
                                        ; implicit-def: $vgpr7
	s_and_saveexec_b64 s[16:17], vcc
	s_xor_b64 s[16:17], exec, s[16:17]
; %bb.1137:                             ;   in Loop: Header=BB8_655 Depth=1
	v_bfe_u32 v7, v17, 16, 1
	v_add3_u32 v7, v17, v7, s65
                                        ; implicit-def: $vgpr17
; %bb.1138:                             ;   in Loop: Header=BB8_655 Depth=1
	s_andn2_saveexec_b64 s[16:17], s[16:17]
; %bb.1139:                             ;   in Loop: Header=BB8_655 Depth=1
	v_or_b32_e32 v7, 0x10000, v17
	v_cmp_eq_u32_sdwa vcc, v17, v1 src0_sel:WORD_0 src1_sel:DWORD
	s_nop 1
	v_cndmask_b32_e32 v7, v7, v17, vcc
; %bb.1140:                             ;   in Loop: Header=BB8_655 Depth=1
	s_or_b64 exec, exec, s[16:17]
	v_mul_f32_e32 v13, v13, v12
	v_and_b32_e32 v12, 0x7f800000, v13
	v_cmp_ne_u32_e32 vcc, s64, v12
                                        ; implicit-def: $vgpr12
	s_and_saveexec_b64 s[16:17], vcc
	s_xor_b64 s[16:17], exec, s[16:17]
; %bb.1141:                             ;   in Loop: Header=BB8_655 Depth=1
	v_bfe_u32 v12, v13, 16, 1
	v_add3_u32 v12, v13, v12, s65
                                        ; implicit-def: $vgpr13
; %bb.1142:                             ;   in Loop: Header=BB8_655 Depth=1
	s_andn2_saveexec_b64 s[16:17], s[16:17]
; %bb.1143:                             ;   in Loop: Header=BB8_655 Depth=1
	v_or_b32_e32 v12, 0x10000, v13
	v_cmp_eq_u32_sdwa vcc, v13, v1 src0_sel:WORD_0 src1_sel:DWORD
	s_nop 1
	v_cndmask_b32_e32 v12, v12, v13, vcc
; %bb.1144:                             ;   in Loop: Header=BB8_655 Depth=1
	s_or_b64 exec, exec, s[16:17]
	v_mul_f32_e32 v11, v11, v10
	v_and_b32_e32 v10, 0x7f800000, v11
	v_cmp_ne_u32_e32 vcc, s64, v10
                                        ; implicit-def: $vgpr10
	s_and_saveexec_b64 s[16:17], vcc
	s_xor_b64 s[16:17], exec, s[16:17]
; %bb.1145:                             ;   in Loop: Header=BB8_655 Depth=1
	v_bfe_u32 v10, v11, 16, 1
	v_add3_u32 v10, v11, v10, s65
                                        ; implicit-def: $vgpr11
; %bb.1146:                             ;   in Loop: Header=BB8_655 Depth=1
	s_andn2_saveexec_b64 s[16:17], s[16:17]
; %bb.1147:                             ;   in Loop: Header=BB8_655 Depth=1
	v_or_b32_e32 v10, 0x10000, v11
	v_cmp_eq_u32_sdwa vcc, v11, v1 src0_sel:WORD_0 src1_sel:DWORD
	s_nop 1
	v_cndmask_b32_e32 v10, v10, v11, vcc
; %bb.1148:                             ;   in Loop: Header=BB8_655 Depth=1
	s_or_b64 exec, exec, s[16:17]
	flat_store_short_d16_hi v[2:3], v4 nt
	flat_store_short_d16_hi v[2:3], v5 offset:128 nt
	flat_store_short_d16_hi v[2:3], v8 offset:256 nt
	;; [unrolled: 1-line block ×7, first 2 shown]
.LBB8_1149:                             ;   in Loop: Header=BB8_655 Depth=1
	s_or_b64 exec, exec, s[14:15]
	v_lshlrev_b32_e32 v0, 10, v0
	v_accvgpr_read_b32 v2, a43
	v_cmp_ne_u32_e32 vcc, v2, v0
	v_accvgpr_read_b32 v18, a38
	s_and_b64 s[14:15], exec, vcc
	v_accvgpr_read_b32 v19, a39
	v_mov_b32_e32 v17, 0x80
	v_mov_b32_e32 v28, v58
	s_mov_b64 exec, s[14:15]
	s_cbranch_execz .LBB8_1175
; %bb.1150:                             ;   in Loop: Header=BB8_655 Depth=1
	v_lshlrev_b32_e32 v2, 6, v16
	v_sub_u32_e32 v2, v15, v2
	v_ashrrev_i32_e32 v3, 31, v2
	v_lshrrev_b32_e32 v3, 26, v3
	v_add_u32_e32 v3, v2, v3
	v_and_b32_e32 v4, 0x7fffffc0, v3
	v_sub_u32_e32 v2, v2, v4
	v_lshlrev_b32_e32 v3, 1, v3
	v_and_b32_e32 v3, 0xffffff80, v3
	v_lshlrev_b32_e32 v2, 1, v2
	v_add3_u32 v0, v3, v2, v0
	v_accvgpr_read_b32 v2, a43
	v_add_u32_e32 v4, v0, v14
	v_sub_u32_e32 v0, v2, v0
	v_accvgpr_read_b32 v2, a44
	v_ashrrev_i32_e32 v5, 31, v4
	v_accvgpr_read_b32 v3, a45
	v_lshl_add_u64 v[2:3], v[4:5], 0, v[2:3]
	v_cmp_lt_i32_e32 vcc, 1, v0
	s_mov_b64 s[14:15], 0
	s_and_saveexec_b64 s[46:47], vcc
	s_cbranch_execz .LBB8_1169
; %bb.1151:                             ;   in Loop: Header=BB8_655 Depth=1
	s_trap 2
	ds_read_b128 v[6:9], v0
	s_mov_b64 s[52:53], 0
	s_mov_b64 s[48:49], 0
                                        ; implicit-def: $sgpr50_sgpr51
	s_waitcnt lgkmcnt(0)
	v_lshl_add_u64 v[10:11], v[6:7], 0, v[4:5]
	v_lshl_add_u64 v[4:5], v[8:9], 0, v[4:5]
	s_branch .LBB8_1153
.LBB8_1152:                             ;   in Loop: Header=BB8_1153 Depth=2
	s_or_b64 exec, exec, s[14:15]
	v_lshrrev_b32_e32 v6, 16, v6
	scratch_store_short off, v6, s33 offset:144
	flat_store_short v[2:3], v6 nt
	v_lshl_add_u64 v[6:7], v[10:11], 0, v[54:55]
	v_cndmask_b32_e64 v10, v10, v6, s[52:53]
	v_cndmask_b32_e64 v6, 0, v52, s[52:53]
	v_sub_u32_e32 v0, v0, v6
	v_cmp_gt_i32_e32 vcc, 2, v0
	s_or_b64 s[48:49], vcc, s[48:49]
	v_lshl_add_u64 v[8:9], v[4:5], 0, v[54:55]
	v_cndmask_b32_e64 v13, 0, v19, s[52:53]
	v_cndmask_b32_e64 v12, v17, v18, s[52:53]
	s_andn2_b64 s[14:15], s[50:51], exec
	s_and_b64 s[16:17], s[52:53], exec
	v_lshl_add_u64 v[2:3], v[2:3], 0, v[12:13]
	v_cndmask_b32_e64 v5, v5, v9, s[52:53]
	v_cndmask_b32_e64 v4, v4, v8, s[52:53]
	;; [unrolled: 1-line block ×3, first 2 shown]
	s_or_b64 s[50:51], s[14:15], s[16:17]
	s_andn2_b64 exec, exec, s[48:49]
	s_cbranch_execz .LBB8_1168
.LBB8_1153:                             ;   Parent Loop BB8_655 Depth=1
                                        ; =>  This Loop Header: Depth=2
                                        ;       Child Loop BB8_1154 Depth 3
                                        ;       Child Loop BB8_1163 Depth 3
	s_add_i32 s14, s33, 0x90
	v_mov_b32_e32 v6, s14
	s_mov_b64 s[54:55], -1
	s_mov_b64 s[56:57], 0
.LBB8_1154:                             ;   Parent Loop BB8_655 Depth=1
                                        ;     Parent Loop BB8_1153 Depth=2
                                        ; =>    This Inner Loop Header: Depth=3
	s_cmp_eq_u32 s56, 1
	s_cselect_b64 vcc, -1, 0
	v_cndmask_b32_e32 v9, v11, v5, vcc
	v_cndmask_b32_e32 v8, v10, v4, vcc
	flat_load_ushort v7, v[8:9] nt
	s_cmp_eq_u32 s56, 0
	v_lshl_add_u64 v[8:9], v[8:9], 0, s[36:37]
	s_cselect_b64 s[14:15], -1, 0
	s_and_b64 s[16:17], exec, s[54:55]
	v_cndmask_b32_e64 v11, v11, v9, s[14:15]
	v_cndmask_b32_e64 v10, v10, v8, s[14:15]
	s_add_i32 s14, s33, 0xb0
	s_mov_b64 s[56:57], 1
	s_mov_b64 s[54:55], 0
	v_cndmask_b32_e32 v5, v5, v9, vcc
	v_cndmask_b32_e32 v4, v4, v8, vcc
	s_mov_b64 vcc, s[16:17]
	s_waitcnt vmcnt(0) lgkmcnt(0)
	scratch_store_short v6, v7, off
	v_mov_b32_e32 v6, s14
	s_cbranch_vccnz .LBB8_1154
; %bb.1155:                             ;   in Loop: Header=BB8_1153 Depth=2
	s_and_saveexec_b64 s[14:15], s[52:53]
	s_cbranch_execz .LBB8_1161
; %bb.1156:                             ;   in Loop: Header=BB8_1153 Depth=2
	scratch_load_ushort v6, off, s33 offset:134
	scratch_load_ushort v7, off, s33 offset:132
	s_waitcnt vmcnt(1)
	v_lshlrev_b32_e32 v6, 16, v6
	s_waitcnt vmcnt(0)
	v_lshlrev_b32_e32 v8, 16, v7
	v_pk_mul_f32 v[12:13], v[6:7], v[8:9] op_sel_hi:[0,1]
	v_and_b32_e32 v6, 0x7f800000, v12
	v_cmp_ne_u32_e32 vcc, s64, v6
                                        ; implicit-def: $vgpr6
	s_and_saveexec_b64 s[16:17], vcc
	s_xor_b64 s[16:17], exec, s[16:17]
; %bb.1157:                             ;   in Loop: Header=BB8_1153 Depth=2
	v_bfe_u32 v6, v12, 16, 1
	v_add3_u32 v6, v12, v6, s65
                                        ; implicit-def: $vgpr12_vgpr13
; %bb.1158:                             ;   in Loop: Header=BB8_1153 Depth=2
	s_andn2_saveexec_b64 s[16:17], s[16:17]
; %bb.1159:                             ;   in Loop: Header=BB8_1153 Depth=2
	v_or_b32_e32 v6, 0x10000, v12
	v_cmp_eq_u32_sdwa vcc, v12, v1 src0_sel:WORD_0 src1_sel:DWORD
	s_nop 1
	v_cndmask_b32_e32 v6, v6, v12, vcc
; %bb.1160:                             ;   in Loop: Header=BB8_1153 Depth=2
	s_or_b64 exec, exec, s[16:17]
	v_lshrrev_b32_e32 v6, 16, v6
	scratch_store_short off, v6, s33 offset:132
	flat_store_short v[2:3], v6 nt
	v_lshl_add_u64 v[2:3], v[2:3], 0, v[18:19]
.LBB8_1161:                             ;   in Loop: Header=BB8_1153 Depth=2
	s_or_b64 exec, exec, s[14:15]
	v_sub_u32_e32 v0, v0, v52
	v_lshl_add_u64 v[10:11], v[10:11], 0, v[54:55]
	v_lshl_add_u64 v[4:5], v[4:5], 0, v[54:55]
	v_cmp_lt_i32_e64 s[52:53], 1, v0
	s_and_saveexec_b64 s[54:55], s[52:53]
	s_cbranch_execz .LBB8_1164
; %bb.1162:                             ;   in Loop: Header=BB8_1153 Depth=2
	s_add_i32 s14, s33, 0x84
	v_mov_b32_e32 v6, s14
	s_mov_b64 s[58:59], 0
	s_mov_b64 s[56:57], -1
.LBB8_1163:                             ;   Parent Loop BB8_655 Depth=1
                                        ;     Parent Loop BB8_1153 Depth=2
                                        ; =>    This Inner Loop Header: Depth=3
	s_cmp_eq_u32 s58, 1
	s_cselect_b64 vcc, -1, 0
	v_cndmask_b32_e32 v9, v11, v5, vcc
	v_cndmask_b32_e32 v8, v10, v4, vcc
	flat_load_ushort v7, v[8:9] nt
	s_cmp_eq_u32 s58, 0
	v_lshl_add_u64 v[8:9], v[8:9], 0, s[36:37]
	s_cselect_b64 s[14:15], -1, 0
	s_and_b64 s[16:17], exec, s[56:57]
	v_cndmask_b32_e64 v11, v11, v9, s[14:15]
	v_cndmask_b32_e64 v10, v10, v8, s[14:15]
	s_add_i32 s14, s33, 0x86
	s_mov_b64 s[58:59], 1
	s_mov_b64 s[56:57], 0
	v_cndmask_b32_e32 v5, v5, v9, vcc
	v_cndmask_b32_e32 v4, v4, v8, vcc
	s_mov_b64 vcc, s[16:17]
	s_waitcnt vmcnt(0) lgkmcnt(0)
	scratch_store_short v6, v7, off
	v_mov_b32_e32 v6, s14
	s_cbranch_vccnz .LBB8_1163
.LBB8_1164:                             ;   in Loop: Header=BB8_1153 Depth=2
	s_or_b64 exec, exec, s[54:55]
	scratch_load_ushort v6, off, s33 offset:176
	scratch_load_ushort v7, off, s33 offset:144
	s_waitcnt vmcnt(0)
	v_lshlrev_b32_e32 v6, 16, v6
	v_lshlrev_b32_e32 v8, 16, v7
	v_pk_mul_f32 v[12:13], v[6:7], v[8:9] op_sel_hi:[0,1]
	v_and_b32_e32 v6, 0x7f800000, v12
	v_cmp_ne_u32_e32 vcc, s64, v6
                                        ; implicit-def: $vgpr6
	s_and_saveexec_b64 s[14:15], vcc
	s_xor_b64 s[14:15], exec, s[14:15]
; %bb.1165:                             ;   in Loop: Header=BB8_1153 Depth=2
	v_bfe_u32 v6, v12, 16, 1
	v_add3_u32 v6, v12, v6, s65
                                        ; implicit-def: $vgpr12_vgpr13
; %bb.1166:                             ;   in Loop: Header=BB8_1153 Depth=2
	s_andn2_saveexec_b64 s[14:15], s[14:15]
	s_cbranch_execz .LBB8_1152
; %bb.1167:                             ;   in Loop: Header=BB8_1153 Depth=2
	v_or_b32_e32 v6, 0x10000, v12
	v_cmp_eq_u32_sdwa vcc, v12, v1 src0_sel:WORD_0 src1_sel:DWORD
	s_nop 1
	v_cndmask_b32_e32 v6, v6, v12, vcc
	s_branch .LBB8_1152
.LBB8_1168:                             ;   in Loop: Header=BB8_655 Depth=1
	s_or_b64 exec, exec, s[48:49]
	s_and_b64 s[14:15], s[50:51], exec
.LBB8_1169:                             ;   in Loop: Header=BB8_655 Depth=1
	s_or_b64 exec, exec, s[46:47]
	s_and_b64 exec, exec, s[14:15]
	s_cbranch_execz .LBB8_1175
; %bb.1170:                             ;   in Loop: Header=BB8_655 Depth=1
	scratch_load_ushort v0, off, s33 offset:134
	scratch_load_ushort v4, off, s33 offset:132
	s_waitcnt vmcnt(0)
	v_lshlrev_b32_e32 v0, 16, v0
	v_lshlrev_b32_e32 v4, 16, v4
	v_pk_mul_f32 v[4:5], v[0:1], v[4:5] op_sel_hi:[0,1]
	v_and_b32_e32 v0, 0x7f800000, v4
	v_cmp_ne_u32_e32 vcc, s64, v0
                                        ; implicit-def: $vgpr0
	s_and_saveexec_b64 s[14:15], vcc
	s_xor_b64 s[14:15], exec, s[14:15]
; %bb.1171:                             ;   in Loop: Header=BB8_655 Depth=1
	v_bfe_u32 v0, v4, 16, 1
	v_add3_u32 v0, v4, v0, s65
                                        ; implicit-def: $vgpr4_vgpr5
; %bb.1172:                             ;   in Loop: Header=BB8_655 Depth=1
	s_andn2_saveexec_b64 s[14:15], s[14:15]
; %bb.1173:                             ;   in Loop: Header=BB8_655 Depth=1
	v_or_b32_e32 v0, 0x10000, v4
	v_cmp_eq_u32_sdwa vcc, v4, v1 src0_sel:WORD_0 src1_sel:DWORD
	s_nop 1
	v_cndmask_b32_e32 v0, v0, v4, vcc
; %bb.1174:                             ;   in Loop: Header=BB8_655 Depth=1
	s_or_b64 exec, exec, s[14:15]
	flat_store_short_d16_hi v[2:3], v0 nt
.LBB8_1175:                             ;   in Loop: Header=BB8_655 Depth=1
	s_or_b64 exec, exec, s[18:19]
	v_accvgpr_read_b32 v0, a42
	v_cmp_ne_u32_e64 s[14:15], 0, v0
	v_accvgpr_read_b32 v11, a41
.LBB8_1176:                             ;   in Loop: Header=BB8_655 Depth=1
	s_and_saveexec_b64 s[16:17], s[4:5]
	s_cbranch_execz .LBB8_1195
; %bb.1177:                             ;   in Loop: Header=BB8_655 Depth=1
	s_and_saveexec_b64 s[18:19], s[28:29]
	s_xor_b64 s[18:19], exec, s[18:19]
	s_cbranch_execz .LBB8_1192
; %bb.1178:                             ;   in Loop: Header=BB8_655 Depth=1
	s_and_saveexec_b64 s[46:47], s[6:7]
	s_cbranch_execz .LBB8_1191
; %bb.1179:                             ;   in Loop: Header=BB8_655 Depth=1
	s_mov_b64 s[50:51], exec
	v_mbcnt_lo_u32_b32 v0, s50, 0
	v_mbcnt_hi_u32_b32 v0, s51, v0
	v_cmp_eq_u32_e32 vcc, 0, v0
	s_waitcnt lgkmcnt(0)
	s_and_saveexec_b64 s[48:49], vcc
	s_cbranch_execz .LBB8_1181
; %bb.1180:                             ;   in Loop: Header=BB8_655 Depth=1
	s_bcnt1_i32_b64 vcc_lo, s[50:51]
	v_mov_b32_e32 v0, vcc_lo
	ds_add_u64 v0, v[0:1]
	s_trap 2
.LBB8_1181:                             ;   in Loop: Header=BB8_655 Depth=1
	s_or_b64 exec, exec, s[48:49]
	s_trap 2
	ds_read_b64 v[2:3], v0
	v_accvgpr_read_b32 v4, a20
	v_accvgpr_read_b32 v6, a24
	;; [unrolled: 1-line block ×4, first 2 shown]
	v_lshl_add_u64 v[4:5], v[4:5], 0, v[6:7]
	v_accvgpr_write_b32 a21, v5
	v_accvgpr_write_b32 a20, v4
	s_waitcnt lgkmcnt(0)
	v_cmp_lt_u64_e32 vcc, v[2:3], v[4:5]
	s_and_saveexec_b64 s[48:49], vcc
	s_cbranch_execz .LBB8_1190
; %bb.1182:                             ;   in Loop: Header=BB8_655 Depth=1
	s_mov_b32 s60, 0
	s_mov_b64 s[50:51], 0
                                        ; implicit-def: $sgpr52_sgpr53
                                        ; implicit-def: $sgpr54_sgpr55
	s_branch .LBB8_1184
.LBB8_1183:                             ;   in Loop: Header=BB8_1184 Depth=2
	s_or_b64 exec, exec, s[58:59]
	s_and_b64 vcc, exec, vcc
	s_or_b64 s[50:51], vcc, s[50:51]
	s_andn2_b64 vcc, s[52:53], exec
	s_and_b64 s[52:53], s[54:55], exec
	s_or_b64 s[52:53], vcc, s[52:53]
	s_andn2_b64 exec, exec, s[50:51]
	s_cbranch_execz .LBB8_1188
.LBB8_1184:                             ;   Parent Loop BB8_655 Depth=1
                                        ; =>  This Inner Loop Header: Depth=2
	s_add_i32 s60, s60, 1
	s_cmpk_lg_i32 s60, 0x2710
	s_cselect_b64 s[56:57], -1, 0
	s_and_b64 vcc, exec, s[56:57]
                                        ; implicit-def: $sgpr58_sgpr59
	s_cbranch_vccnz .LBB8_1186
; %bb.1185:                             ;   in Loop: Header=BB8_1184 Depth=2
	s_trap 2
	ds_read_b64 v[2:3], v0
	s_andn2_b64 s[56:57], s[56:57], exec
	s_mov_b32 s60, 0
	s_mov_b64 s[58:59], -1
	s_waitcnt vmcnt(0) lgkmcnt(0)
	flat_load_dword v0, v[2:3] sc0 sc1
	s_waitcnt vmcnt(0) lgkmcnt(0)
	buffer_inv sc0 sc1
	v_cmp_eq_u32_e32 vcc, 0, v0
	s_and_b64 vcc, vcc, exec
	s_or_b64 s[56:57], s[56:57], vcc
.LBB8_1186:                             ;   in Loop: Header=BB8_1184 Depth=2
	s_andn2_b64 s[54:55], s[54:55], exec
	s_and_b64 s[58:59], s[58:59], exec
	s_mov_b64 vcc, -1
	s_or_b64 s[54:55], s[54:55], s[58:59]
	s_and_saveexec_b64 s[58:59], s[56:57]
	s_cbranch_execz .LBB8_1183
; %bb.1187:                             ;   in Loop: Header=BB8_1184 Depth=2
	s_sleep 1
	s_trap 2
	ds_read_b64 v[2:3], v0
	v_accvgpr_read_b32 v4, a20
	v_accvgpr_read_b32 v5, a21
	s_andn2_b64 s[54:55], s[54:55], exec
	s_waitcnt lgkmcnt(0)
	v_cmp_ge_u64_e32 vcc, v[2:3], v[4:5]
	s_orn2_b64 vcc, vcc, exec
	s_branch .LBB8_1183
.LBB8_1188:                             ;   in Loop: Header=BB8_655 Depth=1
	s_or_b64 exec, exec, s[50:51]
	s_and_saveexec_b64 vcc, s[52:53]
	s_xor_b64 vcc, exec, vcc
	s_cbranch_execz .LBB8_1190
; %bb.1189:                             ;   in Loop: Header=BB8_655 Depth=1
	v_mov_b32_e32 v0, 1
	ds_write_b32 v0, v0
	s_trap 2
.LBB8_1190:                             ;   in Loop: Header=BB8_655 Depth=1
	s_or_b64 exec, exec, s[48:49]
	;;#ASMSTART
	s_wakeup
	;;#ASMEND
.LBB8_1191:                             ;   in Loop: Header=BB8_655 Depth=1
	s_or_b64 exec, exec, s[46:47]
.LBB8_1192:                             ;   in Loop: Header=BB8_655 Depth=1
	s_andn2_saveexec_b64 s[18:19], s[18:19]
	s_cbranch_execz .LBB8_1194
; %bb.1193:                             ;   in Loop: Header=BB8_655 Depth=1
	s_waitcnt lgkmcnt(0)
	s_barrier
.LBB8_1194:                             ;   in Loop: Header=BB8_655 Depth=1
	s_or_b64 exec, exec, s[18:19]
.LBB8_1195:                             ;   in Loop: Header=BB8_655 Depth=1
	s_or_b64 exec, exec, s[16:17]
	v_and_b32_e32 v0, 16, v62
	v_cmp_ne_u32_e32 vcc, 0, v0
	s_and_b64 s[16:17], vcc, s[14:15]
	s_and_saveexec_b64 s[14:15], s[16:17]
	s_cbranch_execz .LBB8_1197
; %bb.1196:                             ;   in Loop: Header=BB8_655 Depth=1
	buffer_wbl2 sc1
	s_waitcnt vmcnt(0) lgkmcnt(0)
	buffer_inv sc1
.LBB8_1197:                             ;   in Loop: Header=BB8_655 Depth=1
	s_or_b64 exec, exec, s[14:15]
	v_and_b32_e32 v0, 32, v62
	v_cmp_ne_u32_e32 vcc, 0, v0
	s_and_saveexec_b64 s[14:15], vcc
	s_cbranch_execz .LBB8_1199
; %bb.1198:                             ;   in Loop: Header=BB8_655 Depth=1
	v_lshl_add_u64 v[50:51], v[50:51], 0, 1
	flat_store_dwordx2 v[42:43], v[50:51] sc0 sc1
.LBB8_1199:                             ;   in Loop: Header=BB8_655 Depth=1
	s_or_b64 exec, exec, s[14:15]
	v_mov_b32_e32 v10, v11
.LBB8_1200:                             ;   in Loop: Header=BB8_655 Depth=1
	s_or_b64 exec, exec, s[44:45]
	s_and_saveexec_b64 s[16:17], s[42:43]
	s_cbranch_execz .LBB8_654
; %bb.1201:                             ;   in Loop: Header=BB8_655 Depth=1
	v_and_b32_e32 v0, 4, v62
	v_cmp_ne_u32_e32 vcc, 0, v0
	s_mov_b64 s[18:19], -1
	v_lshl_add_u64 v[2:3], v[50:51], 0, 1
	s_and_saveexec_b64 s[14:15], vcc
	s_cbranch_execnz .LBB8_1204
; %bb.1202:                             ;   in Loop: Header=BB8_655 Depth=1
	s_or_b64 exec, exec, s[14:15]
	s_xor_b64 s[14:15], s[18:19], -1
	s_and_saveexec_b64 s[18:19], s[14:15]
	s_cbranch_execnz .LBB8_1215
.LBB8_1203:                             ;   in Loop: Header=BB8_655 Depth=1
	s_or_b64 exec, exec, s[18:19]
	s_and_saveexec_b64 s[14:15], s[4:5]
	s_cbranch_execnz .LBB8_1224
	s_branch .LBB8_1242
.LBB8_1204:                             ;   in Loop: Header=BB8_655 Depth=1
	v_lshl_add_u64 v[4:5], v[50:51], 0, 1
	v_cmp_lt_u64_e32 vcc, v[46:47], v[4:5]
	v_mov_b32_e32 v0, 1
	s_and_saveexec_b64 s[18:19], vcc
	s_cbranch_execz .LBB8_1214
; %bb.1205:                             ;   in Loop: Header=BB8_655 Depth=1
	s_mov_b64 s[42:43], 0
	v_mov_b32_e32 v0, 0
                                        ; implicit-def: $sgpr44_sgpr45
	s_branch .LBB8_1209
.LBB8_1206:                             ;   in Loop: Header=BB8_1209 Depth=2
	s_or_b64 exec, exec, s[52:53]
	v_mov_b32_e32 v6, 0
	s_orn2_b64 s[50:51], s[50:51], exec
.LBB8_1207:                             ;   in Loop: Header=BB8_1209 Depth=2
	s_or_b64 exec, exec, s[48:49]
	s_andn2_b64 vcc, s[44:45], exec
	s_and_b64 s[44:45], s[50:51], exec
	s_or_b64 s[44:45], vcc, s[44:45]
	v_mov_b32_e32 v0, v6
.LBB8_1208:                             ;   in Loop: Header=BB8_1209 Depth=2
	s_or_b64 exec, exec, s[46:47]
	s_waitcnt vmcnt(0) lgkmcnt(0)
	v_cmp_ge_u64_e32 vcc, v[46:47], v[4:5]
	s_xor_b64 s[46:47], s[44:45], -1
	s_or_b64 vcc, s[46:47], vcc
	s_and_b64 vcc, exec, vcc
	s_or_b64 s[42:43], vcc, s[42:43]
	s_andn2_b64 exec, exec, s[42:43]
	s_cbranch_execz .LBB8_1213
.LBB8_1209:                             ;   Parent Loop BB8_655 Depth=1
                                        ; =>  This Inner Loop Header: Depth=2
	s_sleep 1
	flat_load_dwordx2 v[46:47], v[42:43] sc0 sc1
	v_and_b32_e32 v6, 64, v62
	v_cmp_eq_u32_e32 vcc, 0, v6
	s_andn2_b64 s[44:45], s[44:45], exec
	s_and_saveexec_b64 s[46:47], vcc
	s_cbranch_execz .LBB8_1208
; %bb.1210:                             ;   in Loop: Header=BB8_1209 Depth=2
	v_add_u32_e32 v6, 1, v0
	v_cmp_lt_i32_e32 vcc, s63, v0
	s_mov_b64 s[50:51], -1
	s_and_saveexec_b64 s[48:49], vcc
	s_cbranch_execz .LBB8_1207
; %bb.1211:                             ;   in Loop: Header=BB8_1209 Depth=2
	s_trap 2
	ds_read_b64 v[6:7], v0
	s_waitcnt vmcnt(0) lgkmcnt(0)
	flat_load_dword v0, v[6:7] sc0 sc1
	s_waitcnt vmcnt(0) lgkmcnt(0)
	buffer_inv sc0 sc1
	v_cmp_ne_u32_e32 vcc, 0, v0
	s_and_saveexec_b64 s[52:53], vcc
	s_cbranch_execz .LBB8_1206
; %bb.1212:                             ;   in Loop: Header=BB8_1209 Depth=2
	v_or_b32_e32 v62, 64, v62
	s_xor_b64 s[50:51], exec, -1
	ds_write_b32 v0, v0
	s_trap 2
	s_branch .LBB8_1206
.LBB8_1213:                             ;   in Loop: Header=BB8_655 Depth=1
	s_or_b64 exec, exec, s[42:43]
	v_and_b32_e32 v0, 4, v62
.LBB8_1214:                             ;   in Loop: Header=BB8_655 Depth=1
	s_or_b64 exec, exec, s[18:19]
	v_cmp_eq_u32_e32 vcc, 0, v0
	s_orn2_b64 s[18:19], vcc, exec
	;;#ASMSTART
	s_wakeup
	;;#ASMEND
	s_or_b64 exec, exec, s[14:15]
	s_xor_b64 s[14:15], s[18:19], -1
	s_and_saveexec_b64 s[18:19], s[14:15]
	s_cbranch_execz .LBB8_1203
.LBB8_1215:                             ;   in Loop: Header=BB8_655 Depth=1
	v_and_b32_e32 v0, 0x100, v62
	v_cmp_ne_u32_e32 vcc, 0, v0
	v_and_b32_e32 v0, 7, v50
	s_mov_b64 s[14:15], -1
                                        ; implicit-def: $vgpr4_vgpr5
	s_and_saveexec_b64 s[42:43], vcc
	s_cbranch_execz .LBB8_1219
; %bb.1216:                             ;   in Loop: Header=BB8_655 Depth=1
	v_mad_u64_u32 v[8:9], s[14:15], v0, 24, v[48:49]
	flat_load_dword v4, v[8:9]
	s_waitcnt vmcnt(0) lgkmcnt(0)
	v_cmp_ne_u32_e32 vcc, 1, v4
	v_cmp_eq_u32_e64 s[14:15], 1, v4
                                        ; implicit-def: $vgpr4_vgpr5
	s_and_saveexec_b64 s[44:45], s[14:15]
	s_cbranch_execz .LBB8_1218
; %bb.1217:                             ;   in Loop: Header=BB8_655 Depth=1
	flat_load_dword v4, v[8:9] offset:4 sc0 sc1
	s_waitcnt vmcnt(0) lgkmcnt(0)
	v_ashrrev_i32_e32 v5, 31, v4
	v_lshrrev_b64 v[4:5], 1, v[4:5]
.LBB8_1218:                             ;   in Loop: Header=BB8_655 Depth=1
	s_or_b64 exec, exec, s[44:45]
	s_orn2_b64 s[14:15], vcc, exec
.LBB8_1219:                             ;   in Loop: Header=BB8_655 Depth=1
	s_or_b64 exec, exec, s[42:43]
	s_and_saveexec_b64 vcc, s[14:15]
; %bb.1220:                             ;   in Loop: Header=BB8_655 Depth=1
	v_accvgpr_read_b32 v4, a16
	v_mad_i64_i32 v[4:5], s[14:15], v0, v4, 0
; %bb.1221:                             ;   in Loop: Header=BB8_655 Depth=1
	s_or_b64 exec, exec, vcc
	v_accvgpr_read_b32 v6, a18
	v_accvgpr_read_b32 v7, a19
	v_lshl_add_u64 v[4:5], v[4:5], 1, v[6:7]
	ds_write_b64 v0, v[4:5] offset:728
	v_and_b32_e32 v0, 0x2000, v62
	v_cmp_ne_u32_e32 vcc, 0, v0
	s_and_saveexec_b64 s[14:15], vcc
	s_cbranch_execz .LBB8_1223
; %bb.1222:                             ;   in Loop: Header=BB8_655 Depth=1
	ds_read_b64 v[4:5], v0 offset:584
	s_waitcnt lgkmcnt(0)
	v_lshl_add_u64 v[4:5], v[4:5], 0, 1
	ds_write_b64 v0, v[4:5] offset:584
.LBB8_1223:                             ;   in Loop: Header=BB8_655 Depth=1
	s_or_b64 exec, exec, s[14:15]
	v_mov_b64_e32 v[50:51], v[2:3]
	s_or_b64 exec, exec, s[18:19]
	s_and_saveexec_b64 s[14:15], s[4:5]
	s_cbranch_execz .LBB8_1242
.LBB8_1224:                             ;   in Loop: Header=BB8_655 Depth=1
	s_and_saveexec_b64 s[18:19], s[28:29]
	s_xor_b64 s[18:19], exec, s[18:19]
	s_cbranch_execz .LBB8_1239
; %bb.1225:                             ;   in Loop: Header=BB8_655 Depth=1
	s_and_saveexec_b64 s[42:43], s[6:7]
	s_cbranch_execz .LBB8_1238
; %bb.1226:                             ;   in Loop: Header=BB8_655 Depth=1
	s_mov_b64 s[46:47], exec
	v_mbcnt_lo_u32_b32 v0, s46, 0
	v_mbcnt_hi_u32_b32 v0, s47, v0
	v_cmp_eq_u32_e32 vcc, 0, v0
	s_waitcnt lgkmcnt(0)
	s_and_saveexec_b64 s[44:45], vcc
	s_cbranch_execz .LBB8_1228
; %bb.1227:                             ;   in Loop: Header=BB8_655 Depth=1
	s_bcnt1_i32_b64 vcc_lo, s[46:47]
	v_mov_b32_e32 v0, vcc_lo
	ds_add_u64 v0, v[0:1]
	s_trap 2
.LBB8_1228:                             ;   in Loop: Header=BB8_655 Depth=1
	s_or_b64 exec, exec, s[44:45]
	s_trap 2
	ds_read_b64 v[2:3], v0
	v_accvgpr_read_b32 v4, a20
	v_accvgpr_read_b32 v6, a24
	;; [unrolled: 1-line block ×4, first 2 shown]
	v_lshl_add_u64 v[4:5], v[4:5], 0, v[6:7]
	v_accvgpr_write_b32 a21, v5
	v_accvgpr_write_b32 a20, v4
	s_waitcnt lgkmcnt(0)
	v_cmp_lt_u64_e32 vcc, v[2:3], v[4:5]
	s_and_saveexec_b64 s[44:45], vcc
	s_cbranch_execz .LBB8_1237
; %bb.1229:                             ;   in Loop: Header=BB8_655 Depth=1
	s_mov_b32 s56, 0
	s_mov_b64 s[46:47], 0
                                        ; implicit-def: $sgpr48_sgpr49
                                        ; implicit-def: $sgpr50_sgpr51
	s_branch .LBB8_1231
.LBB8_1230:                             ;   in Loop: Header=BB8_1231 Depth=2
	s_or_b64 exec, exec, s[54:55]
	s_and_b64 vcc, exec, vcc
	s_or_b64 s[46:47], vcc, s[46:47]
	s_andn2_b64 vcc, s[48:49], exec
	s_and_b64 s[48:49], s[50:51], exec
	s_or_b64 s[48:49], vcc, s[48:49]
	s_andn2_b64 exec, exec, s[46:47]
	s_cbranch_execz .LBB8_1235
.LBB8_1231:                             ;   Parent Loop BB8_655 Depth=1
                                        ; =>  This Inner Loop Header: Depth=2
	s_add_i32 s56, s56, 1
	s_cmpk_lg_i32 s56, 0x2710
	s_cselect_b64 s[52:53], -1, 0
	s_and_b64 vcc, exec, s[52:53]
                                        ; implicit-def: $sgpr54_sgpr55
	s_cbranch_vccnz .LBB8_1233
; %bb.1232:                             ;   in Loop: Header=BB8_1231 Depth=2
	s_trap 2
	ds_read_b64 v[2:3], v0
	s_andn2_b64 s[52:53], s[52:53], exec
	s_mov_b32 s56, 0
	s_mov_b64 s[54:55], -1
	s_waitcnt vmcnt(0) lgkmcnt(0)
	flat_load_dword v0, v[2:3] sc0 sc1
	s_waitcnt vmcnt(0) lgkmcnt(0)
	buffer_inv sc0 sc1
	v_cmp_eq_u32_e32 vcc, 0, v0
	s_and_b64 vcc, vcc, exec
	s_or_b64 s[52:53], s[52:53], vcc
.LBB8_1233:                             ;   in Loop: Header=BB8_1231 Depth=2
	s_andn2_b64 s[50:51], s[50:51], exec
	s_and_b64 s[54:55], s[54:55], exec
	s_mov_b64 vcc, -1
	s_or_b64 s[50:51], s[50:51], s[54:55]
	s_and_saveexec_b64 s[54:55], s[52:53]
	s_cbranch_execz .LBB8_1230
; %bb.1234:                             ;   in Loop: Header=BB8_1231 Depth=2
	s_sleep 1
	s_trap 2
	ds_read_b64 v[2:3], v0
	v_accvgpr_read_b32 v4, a20
	v_accvgpr_read_b32 v5, a21
	s_andn2_b64 s[50:51], s[50:51], exec
	s_waitcnt lgkmcnt(0)
	v_cmp_ge_u64_e32 vcc, v[2:3], v[4:5]
	s_orn2_b64 vcc, vcc, exec
	s_branch .LBB8_1230
.LBB8_1235:                             ;   in Loop: Header=BB8_655 Depth=1
	s_or_b64 exec, exec, s[46:47]
	s_and_saveexec_b64 vcc, s[48:49]
	s_xor_b64 vcc, exec, vcc
	s_cbranch_execz .LBB8_1237
; %bb.1236:                             ;   in Loop: Header=BB8_655 Depth=1
	v_mov_b32_e32 v0, 1
	ds_write_b32 v0, v0
	s_trap 2
.LBB8_1237:                             ;   in Loop: Header=BB8_655 Depth=1
	s_or_b64 exec, exec, s[44:45]
	;;#ASMSTART
	s_wakeup
	;;#ASMEND
.LBB8_1238:                             ;   in Loop: Header=BB8_655 Depth=1
	s_or_b64 exec, exec, s[42:43]
.LBB8_1239:                             ;   in Loop: Header=BB8_655 Depth=1
	s_andn2_saveexec_b64 s[18:19], s[18:19]
	s_cbranch_execz .LBB8_1241
; %bb.1240:                             ;   in Loop: Header=BB8_655 Depth=1
	s_waitcnt lgkmcnt(0)
	s_barrier
.LBB8_1241:                             ;   in Loop: Header=BB8_655 Depth=1
	s_or_b64 exec, exec, s[18:19]
.LBB8_1242:                             ;   in Loop: Header=BB8_655 Depth=1
	s_or_b64 exec, exec, s[14:15]
	s_trap 2
	ds_read_b32 v0, v0
	v_sub_u32_e32 v2, v28, v10
	v_min_i32_e32 v2, v11, v2
	v_cmp_lt_i32_e32 vcc, 0, v2
	s_waitcnt lgkmcnt(0)
	v_readfirstlane_b32 s14, v0
	s_cmp_eq_u32 s14, 0
	s_cselect_b64 s[14:15], -1, 0
	v_and_b32_e32 v0, 16, v62
	s_and_b64 s[14:15], vcc, s[14:15]
	v_cmp_ne_u32_e32 vcc, 0, v0
	s_and_b64 s[18:19], vcc, s[14:15]
	s_and_saveexec_b64 s[14:15], s[18:19]
	s_cbranch_execz .LBB8_1244
; %bb.1243:                             ;   in Loop: Header=BB8_655 Depth=1
	buffer_wbl2 sc1
	s_waitcnt vmcnt(0)
	buffer_inv sc1
.LBB8_1244:                             ;   in Loop: Header=BB8_655 Depth=1
	s_or_b64 exec, exec, s[14:15]
	v_and_b32_e32 v0, 32, v62
	v_cmp_ne_u32_e32 vcc, 0, v0
	s_and_saveexec_b64 s[14:15], vcc
	s_cbranch_execz .LBB8_653
; %bb.1245:                             ;   in Loop: Header=BB8_655 Depth=1
	v_lshl_add_u64 v[50:51], v[50:51], 0, 1
	flat_store_dwordx2 v[42:43], v[50:51] sc0 sc1
	s_branch .LBB8_653
.LBB8_1246:
	s_or_b64 exec, exec, s[38:39]
	v_accvgpr_read_b32 v37, a11
	v_accvgpr_read_b32 v39, a21
	v_mov_b32_e32 v29, v53
	v_accvgpr_read_b32 v31, a0
	v_accvgpr_read_b32 v36, a10
	;; [unrolled: 1-line block ×3, first 2 shown]
.LBB8_1247:
	s_or_b64 exec, exec, s[22:23]
.LBB8_1248:
	s_or_b64 exec, exec, s[20:21]
                                        ; implicit-def: $vgpr34_vgpr35
                                        ; implicit-def: $vgpr22_vgpr23
                                        ; implicit-def: $agpr24_agpr25
                                        ; implicit-def: $agpr16
                                        ; implicit-def: $vgpr46_vgpr47
                                        ; implicit-def: $agpr18_agpr19
                                        ; implicit-def: $vgpr42_vgpr43
                                        ; implicit-def: $vgpr0
                                        ; implicit-def: $vgpr4
                                        ; implicit-def: $vgpr44_vgpr45
.LBB8_1249:
	s_andn2_saveexec_b64 s[18:19], s[26:27]
	s_cbranch_execz .LBB8_1451
; %bb.1250:
	s_mov_b64 s[22:23], 0
	v_cmp_ne_u64_e32 vcc, 0, v[22:23]
	v_mov_b64_e32 v[38:39], 0
	s_and_saveexec_b64 s[20:21], vcc
	s_cbranch_execz .LBB8_1450
; %bb.1251:
	v_ashrrev_i32_e32 v2, 31, v0
	v_lshrrev_b32_e32 v2, 26, v2
	v_add_u32_e32 v2, v0, v2
	v_and_b32_e32 v3, 0xffffffc0, v2
	s_waitcnt vmcnt(0) lgkmcnt(0)
	v_accvgpr_write_b32 a12, v48
	s_lshr_b32 s2, s66, 27
	v_sub_u32_e32 v33, v0, v3
	v_accvgpr_write_b32 a13, v49
	v_accvgpr_write_b32 a14, v50
	;; [unrolled: 1-line block ×3, first 2 shown]
	s_add_i32 s66, s66, s2
	v_cmp_ge_i32_e64 s[2:3], v0, v29
	v_ashrrev_i32_e32 v48, 6, v2
	v_lshlrev_b32_e32 v0, 4, v33
	v_lshrrev_b32_e32 v30, 6, v29
	v_lshl_add_u32 v50, v48, 12, v0
	v_mov_b32_e32 v0, 0xfffff000
	v_lshl_add_u32 v2, v30, 12, v0
	v_ashrrev_i32_e32 v3, 31, v2
	s_mov_b64 s[28:29], 0x1000
	v_accvgpr_write_b32 a29, v3
	v_accvgpr_write_b32 a28, v2
	v_lshl_add_u64 v[40:41], v[2:3], 0, s[28:29]
	v_accvgpr_read_b32 v2, a24
	v_accvgpr_read_b32 v3, a25
	v_lshlrev_b32_e32 v0, 7, v30
	v_cmp_ne_u64_e64 s[14:15], 0, v[2:3]
	v_add_u32_e32 v2, 0xffffff80, v0
	v_ashrrev_i32_e32 v3, 31, v2
	v_accvgpr_read_b32 v1, a2
	v_lshlrev_b32_e32 v49, 10, v30
	s_mov_b64 s[34:35], 0x80
	v_accvgpr_write_b32 a35, v3
	v_cmp_ne_u32_sdwa s[26:27], v1, v29 src0_sel:WORD_0 src1_sel:DWORD
	v_and_b32_e32 v1, 63, v31
	v_add_u32_e32 v58, 0xfffffc00, v49
	v_accvgpr_write_b32 a34, v2
	v_lshl_add_u64 v[2:3], v[2:3], 0, s[34:35]
	v_cmp_eq_u32_e32 vcc, 64, v29
	v_cmp_eq_u32_e64 s[6:7], 0, v1
	v_mov_b32_e32 v1, 0
	v_ashrrev_i32_e32 v59, 31, v58
	s_mov_b64 s[30:31], 0x400
	v_mov_b64_e32 v[52:53], 0
	v_accvgpr_write_b32 a37, v3
	s_ashr_i32 s60, s66, 5
	v_cmp_ne_u32_e64 s[4:5], 64, v29
	v_accvgpr_write_b32 a1, v31
	v_accvgpr_write_b32 a0, v29
	v_mov_b32_e32 v31, v1
	v_cmp_gt_i32_e64 s[10:11], 1, v33
	v_cmp_lt_i32_e64 s[12:13], v33, v4
	v_ashrrev_i32_e32 v51, 31, v50
	v_lshl_add_u64 v[56:57], v[58:59], 0, s[30:31]
	s_movk_i32 s61, 0x270e
	s_xor_b64 s[36:37], vcc, -1
	v_mov_b64_e32 v[38:39], v[52:53]
	v_accvgpr_write_b32 a31, v0
	v_accvgpr_write_b32 a36, v2
	s_trap 2
	s_branch .LBB8_1255
.LBB8_1252:                             ;   in Loop: Header=BB8_1255 Depth=1
	s_or_b64 exec, exec, vcc
	v_accvgpr_read_b32 v2, a12
	v_accvgpr_read_b32 v4, a14
	;; [unrolled: 1-line block ×3, first 2 shown]
	v_lshl_add_u64 v[4:5], v[4:5], 0, 1
	v_accvgpr_read_b32 v3, a13
	v_accvgpr_write_b32 a15, v5
	v_accvgpr_write_b32 a14, v4
	v_accvgpr_write_b32 a13, v3
	v_accvgpr_write_b32 a12, v2
	flat_store_dwordx2 v[42:43], v[4:5] sc0 sc1
.LBB8_1253:                             ;   in Loop: Header=BB8_1255 Depth=1
	s_or_b64 exec, exec, s[16:17]
.LBB8_1254:                             ;   in Loop: Header=BB8_1255 Depth=1
	s_or_b64 exec, exec, s[40:41]
	v_accvgpr_read_b32 v23, a5
	v_lshl_add_u64 v[52:53], v[52:53], 0, v[44:45]
	v_accvgpr_read_b32 v22, a4
	v_cmp_ge_u64_e32 vcc, v[52:53], v[22:23]
	s_or_b64 s[22:23], vcc, s[22:23]
	s_andn2_b64 exec, exec, s[22:23]
	s_cbranch_execz .LBB8_1449
.LBB8_1255:                             ; =>This Loop Header: Depth=1
                                        ;     Child Loop BB8_1264 Depth 2
                                        ;     Child Loop BB8_1288 Depth 2
	;; [unrolled: 1-line block ×10, first 2 shown]
	v_sub_co_u32_e32 v2, vcc, v22, v52
	v_accvgpr_write_b32 a4, v22
	s_nop 0
	v_subb_co_u32_e32 v3, vcc, v23, v53, vcc
	v_cmp_lt_u64_e32 vcc, v[44:45], v[2:3]
	v_accvgpr_write_b32 a5, v23
	s_nop 0
	v_cndmask_b32_e64 v61, v3, 0, vcc
	v_cndmask_b32_e32 v60, v2, v44, vcc
	v_add_u32_e32 v0, 15, v60
	v_cmp_eq_u64_e32 vcc, 0, v[60:61]
	v_and_b32_e32 v0, 0x3ffffff0, v0
	s_or_b64 s[38:39], s[2:3], vcc
	v_max_i32_e32 v2, s60, v0
	s_xor_b64 s[16:17], s[38:39], -1
	v_mov_b32_e32 v0, 0
	s_and_saveexec_b64 s[40:41], s[16:17]
	s_cbranch_execz .LBB8_1402
; %bb.1256:                             ;   in Loop: Header=BB8_1255 Depth=1
	s_and_saveexec_b64 s[16:17], s[0:1]
	s_cbranch_execz .LBB8_1258
; %bb.1257:                             ;   in Loop: Header=BB8_1255 Depth=1
	s_trap 2
	ds_read_b64 v[4:5], v0
	v_mov_b32_e32 v0, v1
	s_waitcnt lgkmcnt(0)
	v_lshl_add_u64 v[4:5], v[34:35], 1, v[4:5]
	v_lshl_add_u64 v[4:5], v[52:53], 1, v[4:5]
	ds_write_b64 v0, v[4:5]
	ds_write_b64 v0, v[0:1]
.LBB8_1258:                             ;   in Loop: Header=BB8_1255 Depth=1
	s_or_b64 exec, exec, s[16:17]
	v_accvgpr_read_b32 v4, a12
	v_and_b32_e32 v0, 8, v62
	v_accvgpr_read_b32 v5, a13
	v_accvgpr_read_b32 v6, a14
	;; [unrolled: 1-line block ×3, first 2 shown]
	v_cmp_ne_u32_e32 vcc, 0, v0
	s_mov_b64 s[42:43], -1
	v_lshl_add_u64 v[4:5], v[6:7], 0, 1
	s_and_saveexec_b64 s[16:17], vcc
	s_cbranch_execz .LBB8_1270
; %bb.1259:                             ;   in Loop: Header=BB8_1255 Depth=1
	v_accvgpr_read_b32 v8, a12
	v_accvgpr_read_b32 v10, a14
	;; [unrolled: 1-line block ×3, first 2 shown]
	v_lshl_add_u64 v[6:7], v[46:47], 0, 8
	v_lshl_add_u64 v[10:11], v[10:11], 0, 1
	v_cmp_lt_u64_e32 vcc, v[6:7], v[10:11]
	v_mov_b32_e32 v0, 1
	v_accvgpr_read_b32 v9, a13
	s_and_saveexec_b64 s[42:43], vcc
	s_cbranch_execz .LBB8_1269
; %bb.1260:                             ;   in Loop: Header=BB8_1255 Depth=1
	s_mov_b64 s[44:45], 0
	v_mov_b32_e32 v0, 0
                                        ; implicit-def: $sgpr46_sgpr47
	s_branch .LBB8_1264
.LBB8_1261:                             ;   in Loop: Header=BB8_1264 Depth=2
	s_or_b64 exec, exec, s[54:55]
	v_mov_b32_e32 v3, 0
	s_orn2_b64 s[52:53], s[52:53], exec
.LBB8_1262:                             ;   in Loop: Header=BB8_1264 Depth=2
	s_or_b64 exec, exec, s[50:51]
	s_andn2_b64 vcc, s[46:47], exec
	s_and_b64 s[46:47], s[52:53], exec
	s_or_b64 s[46:47], vcc, s[46:47]
	v_mov_b32_e32 v0, v3
.LBB8_1263:                             ;   in Loop: Header=BB8_1264 Depth=2
	s_or_b64 exec, exec, s[48:49]
	s_waitcnt vmcnt(0) lgkmcnt(0)
	v_lshl_add_u64 v[6:7], v[46:47], 0, 8
	v_cmp_ge_u64_e32 vcc, v[6:7], v[10:11]
	s_xor_b64 s[48:49], s[46:47], -1
	s_or_b64 vcc, s[48:49], vcc
	s_and_b64 vcc, exec, vcc
	s_or_b64 s[44:45], vcc, s[44:45]
	s_andn2_b64 exec, exec, s[44:45]
	s_cbranch_execz .LBB8_1268
.LBB8_1264:                             ;   Parent Loop BB8_1255 Depth=1
                                        ; =>  This Inner Loop Header: Depth=2
	s_sleep 1
	flat_load_dwordx2 v[46:47], v[42:43] sc0 sc1
	v_and_b32_e32 v3, 64, v62
	v_cmp_eq_u32_e32 vcc, 0, v3
	s_andn2_b64 s[46:47], s[46:47], exec
	s_and_saveexec_b64 s[48:49], vcc
	s_cbranch_execz .LBB8_1263
; %bb.1265:                             ;   in Loop: Header=BB8_1264 Depth=2
	v_add_u32_e32 v3, 1, v0
	v_cmp_lt_i32_e32 vcc, s61, v0
	s_mov_b64 s[52:53], -1
	s_and_saveexec_b64 s[50:51], vcc
	s_cbranch_execz .LBB8_1262
; %bb.1266:                             ;   in Loop: Header=BB8_1264 Depth=2
	s_trap 2
	ds_read_b64 v[6:7], v0
	s_waitcnt vmcnt(0) lgkmcnt(0)
	flat_load_dword v0, v[6:7] sc0 sc1
	s_waitcnt vmcnt(0) lgkmcnt(0)
	buffer_inv sc0 sc1
	v_cmp_ne_u32_e32 vcc, 0, v0
	s_and_saveexec_b64 s[54:55], vcc
	s_cbranch_execz .LBB8_1261
; %bb.1267:                             ;   in Loop: Header=BB8_1264 Depth=2
	v_or_b32_e32 v62, 64, v62
	s_xor_b64 s[52:53], exec, -1
	ds_write_b32 v0, v0
	s_trap 2
	s_branch .LBB8_1261
.LBB8_1268:                             ;   in Loop: Header=BB8_1255 Depth=1
	s_or_b64 exec, exec, s[44:45]
	v_and_b32_e32 v0, 8, v62
.LBB8_1269:                             ;   in Loop: Header=BB8_1255 Depth=1
	s_or_b64 exec, exec, s[42:43]
	v_cmp_eq_u32_e32 vcc, 0, v0
	s_orn2_b64 s[42:43], vcc, exec
	;;#ASMSTART
	s_wakeup
	;;#ASMEND
.LBB8_1270:                             ;   in Loop: Header=BB8_1255 Depth=1
	s_or_b64 exec, exec, s[16:17]
	s_xor_b64 s[16:17], s[42:43], -1
	v_min_u32_e32 v2, v2, v60
	s_and_saveexec_b64 s[42:43], s[16:17]
	s_cbranch_execz .LBB8_1280
; %bb.1271:                             ;   in Loop: Header=BB8_1255 Depth=1
	v_accvgpr_read_b32 v6, a12
	v_and_b32_e32 v0, 0x100, v62
	v_accvgpr_read_b32 v8, a14
	v_cmp_ne_u32_e32 vcc, 0, v0
	v_and_b32_e32 v3, 7, v8
	s_mov_b64 s[16:17], -1
	v_accvgpr_read_b32 v7, a13
                                        ; implicit-def: $vgpr8_vgpr9
	s_and_saveexec_b64 s[44:45], vcc
	s_cbranch_execz .LBB8_1275
; %bb.1272:                             ;   in Loop: Header=BB8_1255 Depth=1
	v_accvgpr_read_b32 v6, a12
	v_accvgpr_read_b32 v7, a13
	v_mad_u64_u32 v[10:11], s[16:17], v3, 24, v[6:7]
	flat_load_dword v6, v[10:11]
	v_lshlrev_b32_e32 v0, 1, v2
	flat_store_dwordx2 v[10:11], v[0:1] offset:8
                                        ; implicit-def: $vgpr8_vgpr9
	s_waitcnt vmcnt(0) lgkmcnt(0)
	v_cmp_ne_u32_e32 vcc, 1, v6
	v_cmp_eq_u32_e64 s[16:17], 1, v6
	s_and_saveexec_b64 s[46:47], s[16:17]
	s_cbranch_execz .LBB8_1274
; %bb.1273:                             ;   in Loop: Header=BB8_1255 Depth=1
	flat_load_dword v6, v[10:11] offset:4 sc0 sc1
	s_waitcnt vmcnt(0) lgkmcnt(0)
	v_ashrrev_i32_e32 v7, 31, v6
	v_lshrrev_b64 v[8:9], 1, v[6:7]
.LBB8_1274:                             ;   in Loop: Header=BB8_1255 Depth=1
	s_or_b64 exec, exec, s[46:47]
	s_orn2_b64 s[16:17], vcc, exec
.LBB8_1275:                             ;   in Loop: Header=BB8_1255 Depth=1
	s_or_b64 exec, exec, s[44:45]
	s_and_saveexec_b64 vcc, s[16:17]
; %bb.1276:                             ;   in Loop: Header=BB8_1255 Depth=1
	v_accvgpr_read_b32 v0, a16
	v_mad_i64_i32 v[8:9], s[16:17], v3, v0, 0
; %bb.1277:                             ;   in Loop: Header=BB8_1255 Depth=1
	s_or_b64 exec, exec, vcc
	v_accvgpr_read_b32 v6, a18
	v_accvgpr_read_b32 v7, a19
	v_lshl_add_u64 v[6:7], v[8:9], 1, v[6:7]
	ds_write_b64 v0, v[6:7] offset:784
	v_and_b32_e32 v0, 0x2000, v62
	v_cmp_ne_u32_e32 vcc, 0, v0
	s_and_saveexec_b64 s[16:17], vcc
	s_cbranch_execz .LBB8_1279
; %bb.1278:                             ;   in Loop: Header=BB8_1255 Depth=1
	ds_read_b64 v[6:7], v0 offset:584
	s_waitcnt lgkmcnt(0)
	v_lshl_add_u64 v[6:7], v[6:7], 0, 1
	ds_write_b64 v0, v[6:7] offset:584
.LBB8_1279:                             ;   in Loop: Header=BB8_1255 Depth=1
	s_or_b64 exec, exec, s[16:17]
	v_accvgpr_write_b32 a15, v5
	v_accvgpr_write_b32 a14, v4
.LBB8_1280:                             ;   in Loop: Header=BB8_1255 Depth=1
	s_or_b64 exec, exec, s[42:43]
	s_and_saveexec_b64 s[16:17], s[4:5]
	s_cbranch_execz .LBB8_1299
; %bb.1281:                             ;   in Loop: Header=BB8_1255 Depth=1
	s_and_saveexec_b64 vcc, s[26:27]
	s_xor_b64 s[42:43], exec, vcc
	s_cbranch_execz .LBB8_1296
; %bb.1282:                             ;   in Loop: Header=BB8_1255 Depth=1
	s_and_saveexec_b64 s[44:45], s[6:7]
	s_cbranch_execz .LBB8_1295
; %bb.1283:                             ;   in Loop: Header=BB8_1255 Depth=1
	s_mov_b64 s[48:49], exec
	v_mbcnt_lo_u32_b32 v0, s48, 0
	v_mbcnt_hi_u32_b32 v0, s49, v0
	v_cmp_eq_u32_e32 vcc, 0, v0
	s_waitcnt lgkmcnt(0)
	s_and_saveexec_b64 s[46:47], vcc
	s_cbranch_execz .LBB8_1285
; %bb.1284:                             ;   in Loop: Header=BB8_1255 Depth=1
	s_bcnt1_i32_b64 vcc_lo, s[48:49]
	v_mov_b32_e32 v0, vcc_lo
	ds_add_u64 v0, v[0:1]
	s_trap 2
.LBB8_1285:                             ;   in Loop: Header=BB8_1255 Depth=1
	s_or_b64 exec, exec, s[46:47]
	s_trap 2
	ds_read_b64 v[4:5], v0
	v_lshl_add_u64 v[38:39], v[38:39], 0, v[30:31]
	s_waitcnt lgkmcnt(0)
	v_cmp_lt_u64_e32 vcc, v[4:5], v[38:39]
	s_and_saveexec_b64 s[46:47], vcc
	s_cbranch_execz .LBB8_1294
; %bb.1286:                             ;   in Loop: Header=BB8_1255 Depth=1
	s_mov_b32 s58, 0
	s_mov_b64 s[48:49], 0
                                        ; implicit-def: $sgpr50_sgpr51
                                        ; implicit-def: $sgpr52_sgpr53
	s_branch .LBB8_1288
.LBB8_1287:                             ;   in Loop: Header=BB8_1288 Depth=2
	s_or_b64 exec, exec, s[56:57]
	s_and_b64 vcc, exec, vcc
	s_or_b64 s[48:49], vcc, s[48:49]
	s_andn2_b64 vcc, s[50:51], exec
	s_and_b64 s[50:51], s[52:53], exec
	s_or_b64 s[50:51], vcc, s[50:51]
	s_andn2_b64 exec, exec, s[48:49]
	s_cbranch_execz .LBB8_1292
.LBB8_1288:                             ;   Parent Loop BB8_1255 Depth=1
                                        ; =>  This Inner Loop Header: Depth=2
	s_add_i32 s58, s58, 1
	s_cmpk_lg_i32 s58, 0x2710
	s_cselect_b64 s[54:55], -1, 0
	s_and_b64 vcc, exec, s[54:55]
                                        ; implicit-def: $sgpr56_sgpr57
	s_cbranch_vccnz .LBB8_1290
; %bb.1289:                             ;   in Loop: Header=BB8_1288 Depth=2
	s_trap 2
	ds_read_b64 v[4:5], v0
	s_andn2_b64 s[54:55], s[54:55], exec
	s_mov_b32 s58, 0
	s_mov_b64 s[56:57], -1
	s_waitcnt lgkmcnt(0)
	flat_load_dword v0, v[4:5] sc0 sc1
	s_waitcnt vmcnt(0) lgkmcnt(0)
	buffer_inv sc0 sc1
	v_cmp_eq_u32_e32 vcc, 0, v0
	s_and_b64 vcc, vcc, exec
	s_or_b64 s[54:55], s[54:55], vcc
.LBB8_1290:                             ;   in Loop: Header=BB8_1288 Depth=2
	s_andn2_b64 s[52:53], s[52:53], exec
	s_and_b64 s[56:57], s[56:57], exec
	s_mov_b64 vcc, -1
	s_or_b64 s[52:53], s[52:53], s[56:57]
	s_and_saveexec_b64 s[56:57], s[54:55]
	s_cbranch_execz .LBB8_1287
; %bb.1291:                             ;   in Loop: Header=BB8_1288 Depth=2
	s_sleep 1
	s_trap 2
	ds_read_b64 v[4:5], v0
	s_andn2_b64 s[52:53], s[52:53], exec
	s_waitcnt lgkmcnt(0)
	v_cmp_ge_u64_e32 vcc, v[4:5], v[38:39]
	s_orn2_b64 vcc, vcc, exec
	s_branch .LBB8_1287
.LBB8_1292:                             ;   in Loop: Header=BB8_1255 Depth=1
	s_or_b64 exec, exec, s[48:49]
	s_and_saveexec_b64 vcc, s[50:51]
	s_xor_b64 vcc, exec, vcc
	s_cbranch_execz .LBB8_1294
; %bb.1293:                             ;   in Loop: Header=BB8_1255 Depth=1
	v_mov_b32_e32 v0, 1
	ds_write_b32 v0, v0
	s_trap 2
.LBB8_1294:                             ;   in Loop: Header=BB8_1255 Depth=1
	s_or_b64 exec, exec, s[46:47]
	;;#ASMSTART
	s_wakeup
	;;#ASMEND
.LBB8_1295:                             ;   in Loop: Header=BB8_1255 Depth=1
	s_or_b64 exec, exec, s[44:45]
.LBB8_1296:                             ;   in Loop: Header=BB8_1255 Depth=1
	s_andn2_saveexec_b64 vcc, s[42:43]
	s_cbranch_execz .LBB8_1298
; %bb.1297:                             ;   in Loop: Header=BB8_1255 Depth=1
	s_waitcnt lgkmcnt(0)
	s_barrier
.LBB8_1298:                             ;   in Loop: Header=BB8_1255 Depth=1
	s_or_b64 exec, exec, vcc
.LBB8_1299:                             ;   in Loop: Header=BB8_1255 Depth=1
	s_or_b64 exec, exec, s[16:17]
	s_trap 2
	ds_read_b32 v3, v0
	v_and_b32_e32 v0, 0x4000, v62
	v_cmp_ne_u32_e32 vcc, 0, v0
	s_and_b64 vcc, s[36:37], vcc
	s_and_saveexec_b64 s[16:17], vcc
	s_cbranch_execz .LBB8_1318
; %bb.1300:                             ;   in Loop: Header=BB8_1255 Depth=1
	s_and_saveexec_b64 vcc, s[26:27]
	s_xor_b64 s[42:43], exec, vcc
	s_cbranch_execz .LBB8_1315
; %bb.1301:                             ;   in Loop: Header=BB8_1255 Depth=1
	s_and_saveexec_b64 s[44:45], s[6:7]
	s_cbranch_execz .LBB8_1314
; %bb.1302:                             ;   in Loop: Header=BB8_1255 Depth=1
	s_mov_b64 s[48:49], exec
	v_mbcnt_lo_u32_b32 v0, s48, 0
	v_mbcnt_hi_u32_b32 v0, s49, v0
	v_cmp_eq_u32_e32 vcc, 0, v0
	s_waitcnt lgkmcnt(0)
	s_and_saveexec_b64 s[46:47], vcc
	s_cbranch_execz .LBB8_1304
; %bb.1303:                             ;   in Loop: Header=BB8_1255 Depth=1
	s_bcnt1_i32_b64 vcc_lo, s[48:49]
	v_mov_b32_e32 v0, vcc_lo
	ds_add_u64 v0, v[0:1]
	s_trap 2
.LBB8_1304:                             ;   in Loop: Header=BB8_1255 Depth=1
	s_or_b64 exec, exec, s[46:47]
	s_trap 2
	ds_read_b64 v[4:5], v0
	v_lshl_add_u64 v[38:39], v[38:39], 0, v[30:31]
	s_waitcnt lgkmcnt(0)
	v_cmp_lt_u64_e32 vcc, v[4:5], v[38:39]
	s_and_saveexec_b64 s[46:47], vcc
	s_cbranch_execz .LBB8_1313
; %bb.1305:                             ;   in Loop: Header=BB8_1255 Depth=1
	s_mov_b32 s58, 0
	s_mov_b64 s[48:49], 0
                                        ; implicit-def: $sgpr50_sgpr51
                                        ; implicit-def: $sgpr52_sgpr53
	s_branch .LBB8_1307
.LBB8_1306:                             ;   in Loop: Header=BB8_1307 Depth=2
	s_or_b64 exec, exec, s[56:57]
	s_and_b64 vcc, exec, vcc
	s_or_b64 s[48:49], vcc, s[48:49]
	s_andn2_b64 vcc, s[50:51], exec
	s_and_b64 s[50:51], s[52:53], exec
	s_or_b64 s[50:51], vcc, s[50:51]
	s_andn2_b64 exec, exec, s[48:49]
	s_cbranch_execz .LBB8_1311
.LBB8_1307:                             ;   Parent Loop BB8_1255 Depth=1
                                        ; =>  This Inner Loop Header: Depth=2
	s_add_i32 s58, s58, 1
	s_cmpk_lg_i32 s58, 0x2710
	s_cselect_b64 s[54:55], -1, 0
	s_and_b64 vcc, exec, s[54:55]
                                        ; implicit-def: $sgpr56_sgpr57
	s_cbranch_vccnz .LBB8_1309
; %bb.1308:                             ;   in Loop: Header=BB8_1307 Depth=2
	s_trap 2
	ds_read_b64 v[4:5], v0
	s_andn2_b64 s[54:55], s[54:55], exec
	s_mov_b32 s58, 0
	s_mov_b64 s[56:57], -1
	s_waitcnt lgkmcnt(0)
	flat_load_dword v0, v[4:5] sc0 sc1
	s_waitcnt vmcnt(0) lgkmcnt(0)
	buffer_inv sc0 sc1
	v_cmp_eq_u32_e32 vcc, 0, v0
	s_and_b64 vcc, vcc, exec
	s_or_b64 s[54:55], s[54:55], vcc
.LBB8_1309:                             ;   in Loop: Header=BB8_1307 Depth=2
	s_andn2_b64 s[52:53], s[52:53], exec
	s_and_b64 s[56:57], s[56:57], exec
	s_mov_b64 vcc, -1
	s_or_b64 s[52:53], s[52:53], s[56:57]
	s_and_saveexec_b64 s[56:57], s[54:55]
	s_cbranch_execz .LBB8_1306
; %bb.1310:                             ;   in Loop: Header=BB8_1307 Depth=2
	s_sleep 1
	s_trap 2
	ds_read_b64 v[4:5], v0
	s_andn2_b64 s[52:53], s[52:53], exec
	s_waitcnt lgkmcnt(0)
	v_cmp_ge_u64_e32 vcc, v[4:5], v[38:39]
	s_orn2_b64 vcc, vcc, exec
	s_branch .LBB8_1306
.LBB8_1311:                             ;   in Loop: Header=BB8_1255 Depth=1
	s_or_b64 exec, exec, s[48:49]
	s_and_saveexec_b64 vcc, s[50:51]
	s_xor_b64 vcc, exec, vcc
	s_cbranch_execz .LBB8_1313
; %bb.1312:                             ;   in Loop: Header=BB8_1255 Depth=1
	v_mov_b32_e32 v0, 1
	ds_write_b32 v0, v0
	s_trap 2
.LBB8_1313:                             ;   in Loop: Header=BB8_1255 Depth=1
	s_or_b64 exec, exec, s[46:47]
	;;#ASMSTART
	s_wakeup
	;;#ASMEND
.LBB8_1314:                             ;   in Loop: Header=BB8_1255 Depth=1
	s_or_b64 exec, exec, s[44:45]
.LBB8_1315:                             ;   in Loop: Header=BB8_1255 Depth=1
	s_andn2_saveexec_b64 vcc, s[42:43]
	s_cbranch_execz .LBB8_1317
; %bb.1316:                             ;   in Loop: Header=BB8_1255 Depth=1
	s_waitcnt lgkmcnt(0)
	s_barrier
.LBB8_1317:                             ;   in Loop: Header=BB8_1255 Depth=1
	s_or_b64 exec, exec, vcc
.LBB8_1318:                             ;   in Loop: Header=BB8_1255 Depth=1
	s_or_b64 exec, exec, s[16:17]
	s_trap 2
	ds_read_b64 v[4:5], v0
	s_waitcnt lgkmcnt(0)
	v_readfirstlane_b32 s16, v4
	v_readfirstlane_b32 s17, v5
	s_cmp_eq_u64 s[16:17], 0
	s_cselect_b64 s[16:17], -1, 0
	s_or_b64 vcc, s[16:17], s[16:17]
	s_mov_b64 s[16:17], 0
	s_and_b64 vcc, exec, vcc
	s_cbranch_vccnz .LBB8_1376
; %bb.1319:                             ;   in Loop: Header=BB8_1255 Depth=1
	s_mov_b64 s[16:17], -1
	s_and_saveexec_b64 s[42:43], s[10:11]
	s_cbranch_execz .LBB8_1321
; %bb.1320:                             ;   in Loop: Header=BB8_1255 Depth=1
	ds_read_b32 v0, v0 offset:720
	s_waitcnt lgkmcnt(0)
	v_and_b32_e32 v0, 15, v0
	v_cmp_eq_u32_e32 vcc, 0, v0
	s_orn2_b64 s[16:17], vcc, exec
.LBB8_1321:                             ;   in Loop: Header=BB8_1255 Depth=1
	s_or_b64 exec, exec, s[42:43]
	s_and_saveexec_b64 s[42:43], s[12:13]
	s_cbranch_execz .LBB8_1323
; %bb.1322:                             ;   in Loop: Header=BB8_1255 Depth=1
	ds_read_b32 v0, v0 offset:784
	s_waitcnt lgkmcnt(0)
	v_and_b32_e32 v0, 15, v0
	v_cmp_eq_u32_e32 vcc, 0, v0
	s_and_b64 vcc, s[16:17], vcc
	s_andn2_b64 s[16:17], s[16:17], exec
	s_and_b64 vcc, vcc, exec
	s_or_b64 s[16:17], s[16:17], vcc
.LBB8_1323:                             ;   in Loop: Header=BB8_1255 Depth=1
	s_or_b64 exec, exec, s[42:43]
	v_cmp_eq_u32_e32 vcc, 0, v3
	s_xor_b64 s[16:17], s[16:17], -1
	v_cndmask_b32_e64 v4, 0, 1, s[16:17]
	v_cndmask_b32_e32 v0, 0, v2, vcc
	;;#ASMSTART
	;;#ASMEND
	s_trap 2
	ds_read_b64 v[54:55], v0
	v_lshlrev_b32_e32 v3, 1, v0
	s_mov_b64 s[16:17], -1
	v_cmp_ne_u32_e32 vcc, 0, v4
	s_cbranch_vccz .LBB8_1332
; %bb.1324:                             ;   in Loop: Header=BB8_1255 Depth=1
	s_mov_b64 s[42:43], -1
	s_mov_b32 s44, 0
	s_cbranch_execnz .LBB8_1333
.LBB8_1325:                             ;   in Loop: Header=BB8_1255 Depth=1
	v_lshrrev_b32_e32 v61, 11, v0
	v_sub_u32_e32 v7, v61, v48
	s_waitcnt lgkmcnt(0)
	v_lshl_add_u64 v[4:5], v[54:55], 0, v[50:51]
	v_cmp_lt_i32_e32 vcc, 0, v7
	s_mov_b64 s[44:45], 0
                                        ; implicit-def: $vgpr10_vgpr11
                                        ; implicit-def: $vgpr14_vgpr15
                                        ; implicit-def: $vgpr18_vgpr19
                                        ; implicit-def: $vgpr22_vgpr23
	s_and_saveexec_b64 s[16:17], vcc
	s_cbranch_execz .LBB8_1335
; %bb.1326:                             ;   in Loop: Header=BB8_1255 Depth=1
	s_trap 2
	ds_read_b64 v[8:9], v0
	v_accvgpr_write_b32 a32, v58
	v_accvgpr_write_b32 a22, v44
	;; [unrolled: 1-line block ×14, first 2 shown]
	s_mov_b64 s[48:49], 0
	v_accvgpr_write_b32 a27, v51
	s_waitcnt lgkmcnt(0)
	v_lshl_add_u64 v[58:59], v[8:9], 0, v[50:51]
                                        ; implicit-def: $sgpr46_sgpr47
                                        ; implicit-def: $vgpr10_vgpr11
                                        ; implicit-def: $vgpr14_vgpr15
                                        ; implicit-def: $vgpr18_vgpr19
                                        ; implicit-def: $vgpr22_vgpr23
	s_branch .LBB8_1328
.LBB8_1327:                             ;   in Loop: Header=BB8_1328 Depth=2
	s_or_b64 exec, exec, vcc
	v_sub_u32_e32 v7, v6, v7
	v_cmp_gt_i32_e32 vcc, 1, v7
	s_or_b64 s[44:45], vcc, s[44:45]
	s_waitcnt vmcnt(0)
	global_store_dwordx4 v[4:5], v[26:29], off nt
	s_waitcnt vmcnt(3)
	global_store_dwordx4 v[4:5], v[32:35], off offset:1024 nt
	s_waitcnt vmcnt(3)
	global_store_dwordx4 v[4:5], v[36:39], off offset:2048 nt
	;; [unrolled: 2-line block ×3, first 2 shown]
	v_lshl_add_u64 v[4:5], v[4:5], 0, v[44:45]
	s_andn2_b64 vcc, s[46:47], exec
	s_and_b64 s[46:47], s[48:49], exec
	v_lshl_add_u64 v[4:5], v[4:5], 0, s[28:29]
	v_lshl_add_u64 v[58:59], v[58:59], 0, v[44:45]
	s_or_b64 s[46:47], vcc, s[46:47]
	s_andn2_b64 exec, exec, s[44:45]
	s_cbranch_execz .LBB8_1334
.LBB8_1328:                             ;   Parent Loop BB8_1255 Depth=1
                                        ; =>  This Inner Loop Header: Depth=2
	global_load_dwordx4 v[26:29], v[58:59], off nt
	global_load_dwordx4 v[32:35], v[58:59], off offset:1024 nt
	global_load_dwordx4 v[36:39], v[58:59], off offset:2048 nt
	;; [unrolled: 1-line block ×3, first 2 shown]
	s_and_saveexec_b64 vcc, s[48:49]
	s_cbranch_execz .LBB8_1330
; %bb.1329:                             ;   in Loop: Header=BB8_1328 Depth=2
	global_store_dwordx4 v[4:5], v[10:13], off nt
	global_store_dwordx4 v[4:5], v[14:17], off offset:1024 nt
	global_store_dwordx4 v[4:5], v[18:21], off offset:2048 nt
	;; [unrolled: 1-line block ×3, first 2 shown]
	v_lshl_add_u64 v[4:5], v[4:5], 0, v[40:41]
.LBB8_1330:                             ;   in Loop: Header=BB8_1328 Depth=2
	s_or_b64 exec, exec, vcc
	v_sub_u32_e32 v6, v7, v30
	v_lshl_add_u64 v[58:59], v[58:59], 0, v[40:41]
	v_cmp_lt_i32_e64 s[48:49], 0, v6
	v_mov_b32_e32 v7, 0
	v_mov_b64_e32 v[44:45], 0
	s_and_saveexec_b64 vcc, s[48:49]
	s_cbranch_execz .LBB8_1327
; %bb.1331:                             ;   in Loop: Header=BB8_1328 Depth=2
	global_load_dwordx4 v[10:13], v[58:59], off nt
	global_load_dwordx4 v[14:17], v[58:59], off offset:1024 nt
	global_load_dwordx4 v[18:21], v[58:59], off offset:2048 nt
	;; [unrolled: 1-line block ×3, first 2 shown]
	v_accvgpr_read_b32 v45, a29
	v_lshl_add_u64 v[58:59], v[58:59], 0, s[28:29]
	v_mov_b32_e32 v7, v30
	v_accvgpr_read_b32 v44, a28
	s_branch .LBB8_1327
.LBB8_1332:                             ;   in Loop: Header=BB8_1255 Depth=1
	s_mov_b64 s[42:43], 0
                                        ; implicit-def: $sgpr44
	s_andn2_b64 vcc, exec, s[16:17]
	s_cbranch_vccz .LBB8_1325
.LBB8_1333:                             ;   in Loop: Header=BB8_1255 Depth=1
	v_mov_b32_e32 v14, s44
	v_mov_b32_e32 v15, v33
	;; [unrolled: 1-line block ×3, first 2 shown]
	s_and_saveexec_b64 s[16:17], s[42:43]
	s_cbranch_execnz .LBB8_1354
	s_branch .LBB8_1375
.LBB8_1334:                             ;   in Loop: Header=BB8_1255 Depth=1
	s_or_b64 exec, exec, s[44:45]
	v_accvgpr_read_b32 v35, a7
	v_accvgpr_read_b32 v37, a11
	;; [unrolled: 1-line block ×6, first 2 shown]
	s_and_b64 s[44:45], s[46:47], exec
	v_accvgpr_read_b32 v34, a6
	v_accvgpr_read_b32 v36, a10
	;; [unrolled: 1-line block ×9, first 2 shown]
.LBB8_1335:                             ;   in Loop: Header=BB8_1255 Depth=1
	s_or_b64 exec, exec, s[16:17]
	s_and_saveexec_b64 s[16:17], s[44:45]
	s_cbranch_execz .LBB8_1337
; %bb.1336:                             ;   in Loop: Header=BB8_1255 Depth=1
	global_store_dwordx4 v[4:5], v[10:13], off nt
	global_store_dwordx4 v[4:5], v[14:17], off offset:1024 nt
	global_store_dwordx4 v[4:5], v[18:21], off offset:2048 nt
	;; [unrolled: 1-line block ×3, first 2 shown]
.LBB8_1337:                             ;   in Loop: Header=BB8_1255 Depth=1
	s_or_b64 exec, exec, s[16:17]
	v_lshlrev_b32_e32 v6, 12, v61
	v_cmp_ne_u32_e32 vcc, v3, v6
                                        ; implicit-def: $vgpr14
                                        ; implicit-def: $vgpr15
                                        ; implicit-def: $vgpr4
	s_and_saveexec_b64 s[44:45], vcc
	s_cbranch_execz .LBB8_1353
; %bb.1338:                             ;   in Loop: Header=BB8_1255 Depth=1
	v_lshlrev_b32_e32 v5, 6, v7
	v_sub_u32_e32 v5, v33, v5
	v_ashrrev_i32_e32 v7, 31, v5
	v_lshrrev_b32_e32 v7, 26, v7
	v_add_u32_e32 v7, v5, v7
	v_ashrrev_i32_e32 v9, 6, v7
	v_and_b32_e32 v7, 0xffffffc0, v7
	v_sub_u32_e32 v7, v5, v7
	v_lshlrev_b32_e32 v5, 4, v7
	v_sub_u32_e32 v4, v3, v6
	v_lshl_add_u32 v5, v9, 10, v5
	v_add_u32_e32 v12, v5, v6
	v_sub_u32_e32 v21, v4, v5
	v_ashrrev_i32_e32 v5, 31, v4
	v_lshrrev_b32_e32 v5, 22, v5
	v_add_u32_e32 v5, v4, v5
	v_and_b32_e32 v8, 0xfffffc00, v5
	v_sub_u32_e32 v20, v4, v8
	v_ashrrev_i32_e32 v10, 10, v5
	v_cmp_lt_i32_e32 vcc, 15, v20
	v_ashrrev_i32_e32 v13, 31, v12
	s_mov_b64 s[48:49], 0
	v_addc_co_u32_e64 v4, s[16:17], 0, v10, vcc
	v_sub_u32_e32 v9, v4, v9
	v_lshl_add_u64 v[4:5], v[12:13], 0, v[54:55]
	v_cmp_lt_i32_e64 s[16:17], 15, v21
                                        ; implicit-def: $vgpr10_vgpr11
	s_and_saveexec_b64 s[46:47], s[16:17]
	s_cbranch_execz .LBB8_1348
; %bb.1339:                             ;   in Loop: Header=BB8_1255 Depth=1
	s_trap 2
	ds_read_b64 v[10:11], v0
	s_mov_b64 s[52:53], 0
                                        ; implicit-def: $sgpr50_sgpr51
	s_waitcnt lgkmcnt(0)
	v_lshl_add_u64 v[18:19], v[10:11], 0, v[12:13]
                                        ; implicit-def: $vgpr10_vgpr11
	s_branch .LBB8_1341
.LBB8_1340:                             ;   in Loop: Header=BB8_1341 Depth=2
	s_or_b64 exec, exec, s[16:17]
	v_cmp_gt_i32_e64 s[16:17], 16, v21
	s_or_b64 s[48:49], s[16:17], s[48:49]
	s_andn2_b64 s[16:17], s[50:51], exec
	s_and_b64 s[50:51], s[52:53], exec
	s_or_b64 s[50:51], s[16:17], s[50:51]
	s_andn2_b64 exec, exec, s[48:49]
	s_cbranch_execz .LBB8_1347
.LBB8_1341:                             ;   Parent Loop BB8_1255 Depth=1
                                        ; =>  This Inner Loop Header: Depth=2
	global_load_dwordx4 v[14:17], v[18:19], off nt
	s_and_saveexec_b64 s[16:17], s[52:53]
	s_cbranch_execz .LBB8_1343
; %bb.1342:                             ;   in Loop: Header=BB8_1341 Depth=2
	v_lshl_add_u64 v[22:23], v[4:5], 0, v[56:57]
	global_store_dwordx4 v[4:5], v[10:13], off nt
	v_mov_b64_e32 v[4:5], v[22:23]
.LBB8_1343:                             ;   in Loop: Header=BB8_1341 Depth=2
	s_or_b64 exec, exec, s[16:17]
	v_sub_u32_e32 v21, v21, v49
	v_lshl_add_u64 v[18:19], v[18:19], 0, v[56:57]
	v_cmp_lt_i32_e64 s[52:53], 15, v21
	s_and_saveexec_b64 s[16:17], s[52:53]
	s_cbranch_execz .LBB8_1345
; %bb.1344:                             ;   in Loop: Header=BB8_1341 Depth=2
	global_load_dwordx4 v[10:13], v[18:19], off nt
	v_lshl_add_u64 v[18:19], v[18:19], 0, s[30:31]
.LBB8_1345:                             ;   in Loop: Header=BB8_1341 Depth=2
	s_or_b64 exec, exec, s[16:17]
	v_sub_u32_e32 v9, v9, v30
	s_waitcnt vmcnt(0)
	global_store_dwordx4 v[4:5], v[14:17], off nt
	v_lshl_add_u64 v[4:5], v[4:5], 0, s[30:31]
	s_and_saveexec_b64 s[16:17], s[52:53]
	s_cbranch_execz .LBB8_1340
; %bb.1346:                             ;   in Loop: Header=BB8_1341 Depth=2
	v_lshl_add_u64 v[4:5], v[4:5], 0, v[58:59]
	v_lshl_add_u64 v[18:19], v[18:19], 0, v[58:59]
	v_sub_u32_e32 v21, v21, v49
	v_sub_u32_e32 v9, v9, v30
	s_branch .LBB8_1340
.LBB8_1347:                             ;   in Loop: Header=BB8_1255 Depth=1
	s_or_b64 exec, exec, s[48:49]
	s_and_b64 s[48:49], s[50:51], exec
.LBB8_1348:                             ;   in Loop: Header=BB8_1255 Depth=1
	s_or_b64 exec, exec, s[46:47]
	s_and_saveexec_b64 s[16:17], s[48:49]
	s_cbranch_execz .LBB8_1350
; %bb.1349:                             ;   in Loop: Header=BB8_1255 Depth=1
	global_store_dwordx4 v[4:5], v[10:13], off nt
.LBB8_1350:                             ;   in Loop: Header=BB8_1255 Depth=1
	s_or_b64 exec, exec, s[16:17]
	v_and_b32_e32 v5, 14, v3
	v_cndmask_b32_e32 v3, v20, v5, vcc
	v_cmp_ne_u32_e64 s[16:17], 0, v3
	s_mov_b64 s[48:49], s[42:43]
                                        ; implicit-def: $vgpr14
                                        ; implicit-def: $vgpr15
                                        ; implicit-def: $vgpr4
	s_and_saveexec_b64 s[46:47], s[16:17]
	s_cbranch_execz .LBB8_1352
; %bb.1351:                             ;   in Loop: Header=BB8_1255 Depth=1
	v_sub_u32_e32 v4, v20, v5
	v_cndmask_b32_e32 v4, 0, v4, vcc
	v_cmp_lt_i32_e32 vcc, 0, v9
	v_add3_u32 v14, v8, v6, v4
	s_or_b64 s[48:49], s[42:43], exec
	v_cndmask_b32_e32 v4, 0, v30, vcc
	v_sub_u32_e32 v4, v4, v9
	v_lshl_add_u32 v5, v4, 6, v7
	v_ashrrev_i32_e32 v4, 31, v5
	v_lshrrev_b32_e32 v4, 26, v4
	v_add_u32_e32 v6, v5, v4
	v_ashrrev_i32_e32 v4, 6, v6
	v_and_b32_e32 v6, 0xffffffc0, v6
	v_sub_u32_e32 v15, v5, v6
.LBB8_1352:                             ;   in Loop: Header=BB8_1255 Depth=1
	s_or_b64 exec, exec, s[46:47]
	s_andn2_b64 s[16:17], s[42:43], exec
	s_and_b64 vcc, s[48:49], exec
	s_or_b64 s[42:43], s[16:17], vcc
.LBB8_1353:                             ;   in Loop: Header=BB8_1255 Depth=1
	s_or_b64 exec, exec, s[44:45]
	s_and_saveexec_b64 s[16:17], s[42:43]
	s_cbranch_execz .LBB8_1375
.LBB8_1354:                             ;   in Loop: Header=BB8_1255 Depth=1
	v_lshlrev_b32_e32 v5, 10, v4
	v_lshlrev_b32_e32 v6, 1, v15
	v_add3_u32 v10, v14, v6, v5
	v_ashrrev_i32_e32 v5, 31, v3
	v_lshrrev_b32_e32 v5, 22, v5
	v_add_u32_e32 v5, v3, v5
	v_ashrrev_i32_e32 v6, 10, v5
	v_sub_u32_e32 v12, v6, v4
	v_ashrrev_i32_e32 v11, 31, v10
	s_waitcnt lgkmcnt(0)
	v_lshl_add_u64 v[4:5], v[54:55], 0, v[10:11]
	v_cmp_lt_i32_e32 vcc, 0, v12
	s_mov_b64 s[44:45], 0
                                        ; implicit-def: $vgpr7
                                        ; implicit-def: $vgpr8
                                        ; implicit-def: $vgpr9
                                        ; implicit-def: $vgpr16
                                        ; implicit-def: $vgpr17
                                        ; implicit-def: $vgpr18
                                        ; implicit-def: $vgpr19
                                        ; implicit-def: $vgpr20
	s_and_saveexec_b64 s[42:43], vcc
	s_cbranch_execz .LBB8_1362
; %bb.1355:                             ;   in Loop: Header=BB8_1255 Depth=1
	s_trap 2
	ds_read_b64 v[8:9], v0
	s_mov_b64 s[48:49], 0
                                        ; implicit-def: $sgpr46_sgpr47
                                        ; implicit-def: $vgpr7
                                        ; implicit-def: $vgpr16
                                        ; implicit-def: $vgpr17
                                        ; implicit-def: $vgpr18
                                        ; implicit-def: $vgpr19
                                        ; implicit-def: $vgpr20
	s_waitcnt lgkmcnt(0)
	v_lshl_add_u64 v[10:11], v[8:9], 0, v[10:11]
                                        ; implicit-def: $vgpr8
                                        ; implicit-def: $vgpr9
	s_branch .LBB8_1357
.LBB8_1356:                             ;   in Loop: Header=BB8_1357 Depth=2
	s_or_b64 exec, exec, vcc
	s_waitcnt vmcnt(0) lgkmcnt(0)
	flat_store_short v[4:5], v21 nt
	flat_store_short v[4:5], v22 offset:128 nt
	flat_store_short v[4:5], v23 offset:256 nt
	;; [unrolled: 1-line block ×7, first 2 shown]
	v_lshl_add_u64 v[4:5], v[4:5], 0, v[12:13]
	v_lshl_add_u64 v[10:11], v[10:11], 0, v[12:13]
	v_sub_u32_e32 v12, v29, v32
	v_cmp_gt_i32_e32 vcc, 1, v12
	s_or_b64 s[44:45], vcc, s[44:45]
	s_andn2_b64 vcc, s[46:47], exec
	s_and_b64 s[46:47], s[48:49], exec
	v_lshl_add_u64 v[4:5], v[4:5], 0, s[30:31]
	s_or_b64 s[46:47], vcc, s[46:47]
	s_andn2_b64 exec, exec, s[44:45]
	s_cbranch_execz .LBB8_1361
.LBB8_1357:                             ;   Parent Loop BB8_1255 Depth=1
                                        ; =>  This Inner Loop Header: Depth=2
	flat_load_ushort v21, v[10:11] nt
	flat_load_ushort v22, v[10:11] offset:128 nt
	flat_load_ushort v23, v[10:11] offset:256 nt
	;; [unrolled: 1-line block ×7, first 2 shown]
	s_and_saveexec_b64 vcc, s[48:49]
	s_cbranch_execz .LBB8_1359
; %bb.1358:                             ;   in Loop: Header=BB8_1357 Depth=2
	flat_store_short v[4:5], v7 nt
	flat_store_short v[4:5], v8 offset:128 nt
	flat_store_short v[4:5], v9 offset:256 nt
	;; [unrolled: 1-line block ×7, first 2 shown]
	v_lshl_add_u64 v[4:5], v[4:5], 0, v[56:57]
.LBB8_1359:                             ;   in Loop: Header=BB8_1357 Depth=2
	s_or_b64 exec, exec, vcc
	v_sub_u32_e32 v29, v12, v30
	v_lshl_add_u64 v[10:11], v[10:11], 0, v[56:57]
	v_cmp_lt_i32_e64 s[48:49], 0, v29
	v_mov_b32_e32 v32, 0
	v_mov_b64_e32 v[12:13], 0
	s_and_saveexec_b64 vcc, s[48:49]
	s_cbranch_execz .LBB8_1356
; %bb.1360:                             ;   in Loop: Header=BB8_1357 Depth=2
	flat_load_ushort v7, v[10:11] nt
	flat_load_ushort v8, v[10:11] offset:128 nt
	flat_load_ushort v9, v[10:11] offset:256 nt
	;; [unrolled: 1-line block ×7, first 2 shown]
	v_lshl_add_u64 v[10:11], v[10:11], 0, s[30:31]
	v_mov_b32_e32 v32, v30
	v_mov_b64_e32 v[12:13], v[58:59]
	s_branch .LBB8_1356
.LBB8_1361:                             ;   in Loop: Header=BB8_1255 Depth=1
	s_or_b64 exec, exec, s[44:45]
	s_and_b64 s[44:45], s[46:47], exec
.LBB8_1362:                             ;   in Loop: Header=BB8_1255 Depth=1
	s_or_b64 exec, exec, s[42:43]
	s_and_saveexec_b64 vcc, s[44:45]
	s_cbranch_execz .LBB8_1364
; %bb.1363:                             ;   in Loop: Header=BB8_1255 Depth=1
	flat_store_short v[4:5], v7 nt
	flat_store_short v[4:5], v8 offset:128 nt
	flat_store_short v[4:5], v9 offset:256 nt
	;; [unrolled: 1-line block ×7, first 2 shown]
.LBB8_1364:                             ;   in Loop: Header=BB8_1255 Depth=1
	s_or_b64 exec, exec, vcc
	v_lshlrev_b32_e32 v4, 10, v6
	v_cmp_ne_u32_e32 vcc, v3, v4
	v_accvgpr_read_b32 v18, a36
	s_and_b64 vcc, exec, vcc
	v_accvgpr_read_b32 v16, a31
	v_accvgpr_read_b32 v19, a37
	s_mov_b64 exec, vcc
	s_cbranch_execz .LBB8_1375
; %bb.1365:                             ;   in Loop: Header=BB8_1255 Depth=1
	v_lshlrev_b32_e32 v5, 6, v12
	v_sub_u32_e32 v5, v15, v5
	v_ashrrev_i32_e32 v6, 31, v5
	v_lshrrev_b32_e32 v6, 26, v6
	v_add_u32_e32 v6, v5, v6
	v_and_b32_e32 v7, 0x7fffffc0, v6
	v_sub_u32_e32 v5, v5, v7
	v_lshlrev_b32_e32 v6, 1, v6
	v_and_b32_e32 v6, 0xffffff80, v6
	v_lshlrev_b32_e32 v5, 1, v5
	v_add3_u32 v4, v6, v5, v4
	v_add_u32_e32 v10, v4, v14
	v_sub_u32_e32 v6, v3, v4
	v_ashrrev_i32_e32 v11, 31, v10
	v_lshl_add_u64 v[4:5], v[54:55], 0, v[10:11]
	v_cmp_lt_i32_e32 vcc, 1, v6
	s_mov_b64 s[44:45], 0
                                        ; implicit-def: $vgpr3
	s_and_saveexec_b64 s[42:43], vcc
	s_cbranch_execz .LBB8_1373
; %bb.1366:                             ;   in Loop: Header=BB8_1255 Depth=1
	s_trap 2
	ds_read_b64 v[8:9], v0
	s_mov_b64 s[48:49], 0
                                        ; implicit-def: $sgpr46_sgpr47
                                        ; implicit-def: $vgpr3
	s_waitcnt lgkmcnt(0)
	v_lshl_add_u64 v[10:11], v[8:9], 0, v[10:11]
	s_branch .LBB8_1368
.LBB8_1367:                             ;   in Loop: Header=BB8_1368 Depth=2
	s_or_b64 exec, exec, vcc
	v_sub_u32_e32 v6, v6, v8
	v_cmp_gt_i32_e32 vcc, 2, v6
	s_or_b64 s[44:45], vcc, s[44:45]
	s_waitcnt vmcnt(0) lgkmcnt(0)
	flat_store_short v[4:5], v7 nt
	v_lshl_add_u64 v[4:5], v[4:5], 0, v[12:13]
	s_andn2_b64 vcc, s[46:47], exec
	s_and_b64 s[46:47], s[48:49], exec
	v_lshl_add_u64 v[10:11], v[10:11], 0, v[12:13]
	v_lshl_add_u64 v[4:5], v[4:5], 0, s[34:35]
	s_or_b64 s[46:47], vcc, s[46:47]
	s_andn2_b64 exec, exec, s[44:45]
	s_cbranch_execz .LBB8_1372
.LBB8_1368:                             ;   Parent Loop BB8_1255 Depth=1
                                        ; =>  This Inner Loop Header: Depth=2
	flat_load_ushort v7, v[10:11] nt
	s_and_saveexec_b64 vcc, s[48:49]
	s_cbranch_execz .LBB8_1370
; %bb.1369:                             ;   in Loop: Header=BB8_1368 Depth=2
	v_lshl_add_u64 v[8:9], v[4:5], 0, v[18:19]
	flat_store_short v[4:5], v3 nt
	v_mov_b64_e32 v[4:5], v[8:9]
.LBB8_1370:                             ;   in Loop: Header=BB8_1368 Depth=2
	s_or_b64 exec, exec, vcc
	v_sub_u32_e32 v6, v6, v16
	v_lshl_add_u64 v[10:11], v[10:11], 0, v[18:19]
	v_cmp_lt_i32_e64 s[48:49], 1, v6
	v_mov_b32_e32 v8, 0
	v_mov_b64_e32 v[12:13], 0
	s_and_saveexec_b64 vcc, s[48:49]
	s_cbranch_execz .LBB8_1367
; %bb.1371:                             ;   in Loop: Header=BB8_1368 Depth=2
	flat_load_ushort v3, v[10:11] nt
	v_accvgpr_read_b32 v12, a34
	v_lshl_add_u64 v[10:11], v[10:11], 0, s[34:35]
	v_mov_b32_e32 v8, v16
	v_accvgpr_read_b32 v13, a35
	s_branch .LBB8_1367
.LBB8_1372:                             ;   in Loop: Header=BB8_1255 Depth=1
	s_or_b64 exec, exec, s[44:45]
	s_and_b64 s[44:45], s[46:47], exec
.LBB8_1373:                             ;   in Loop: Header=BB8_1255 Depth=1
	s_or_b64 exec, exec, s[42:43]
	s_and_b64 exec, exec, s[44:45]
	s_cbranch_execz .LBB8_1375
; %bb.1374:                             ;   in Loop: Header=BB8_1255 Depth=1
	flat_store_short v[4:5], v3 nt
.LBB8_1375:                             ;   in Loop: Header=BB8_1255 Depth=1
	s_or_b64 exec, exec, s[16:17]
	v_cmp_ne_u32_e64 s[16:17], 0, v0
.LBB8_1376:                             ;   in Loop: Header=BB8_1255 Depth=1
	s_and_saveexec_b64 s[42:43], s[4:5]
	s_cbranch_execz .LBB8_1395
; %bb.1377:                             ;   in Loop: Header=BB8_1255 Depth=1
	s_and_saveexec_b64 vcc, s[26:27]
	s_xor_b64 s[44:45], exec, vcc
	s_cbranch_execz .LBB8_1392
; %bb.1378:                             ;   in Loop: Header=BB8_1255 Depth=1
	s_and_saveexec_b64 s[46:47], s[6:7]
	s_cbranch_execz .LBB8_1391
; %bb.1379:                             ;   in Loop: Header=BB8_1255 Depth=1
	s_mov_b64 s[50:51], exec
	v_mbcnt_lo_u32_b32 v0, s50, 0
	v_mbcnt_hi_u32_b32 v0, s51, v0
	v_cmp_eq_u32_e32 vcc, 0, v0
	s_waitcnt lgkmcnt(0)
	s_and_saveexec_b64 s[48:49], vcc
	s_cbranch_execz .LBB8_1381
; %bb.1380:                             ;   in Loop: Header=BB8_1255 Depth=1
	s_bcnt1_i32_b64 vcc_lo, s[50:51]
	v_mov_b32_e32 v0, vcc_lo
	ds_add_u64 v0, v[0:1]
	s_trap 2
.LBB8_1381:                             ;   in Loop: Header=BB8_1255 Depth=1
	s_or_b64 exec, exec, s[48:49]
	s_trap 2
	ds_read_b64 v[4:5], v0
	v_lshl_add_u64 v[38:39], v[38:39], 0, v[30:31]
	s_waitcnt lgkmcnt(0)
	v_cmp_lt_u64_e32 vcc, v[4:5], v[38:39]
	s_and_saveexec_b64 s[48:49], vcc
	s_cbranch_execz .LBB8_1390
; %bb.1382:                             ;   in Loop: Header=BB8_1255 Depth=1
	s_mov_b32 s62, 0
	s_mov_b64 s[50:51], 0
                                        ; implicit-def: $sgpr52_sgpr53
                                        ; implicit-def: $sgpr54_sgpr55
	s_branch .LBB8_1384
.LBB8_1383:                             ;   in Loop: Header=BB8_1384 Depth=2
	s_or_b64 exec, exec, s[58:59]
	s_and_b64 vcc, exec, vcc
	s_or_b64 s[50:51], vcc, s[50:51]
	s_andn2_b64 vcc, s[52:53], exec
	s_and_b64 s[52:53], s[54:55], exec
	s_or_b64 s[52:53], vcc, s[52:53]
	s_andn2_b64 exec, exec, s[50:51]
	s_cbranch_execz .LBB8_1388
.LBB8_1384:                             ;   Parent Loop BB8_1255 Depth=1
                                        ; =>  This Inner Loop Header: Depth=2
	s_add_i32 s62, s62, 1
	s_cmpk_lg_i32 s62, 0x2710
	s_cselect_b64 s[56:57], -1, 0
	s_and_b64 vcc, exec, s[56:57]
                                        ; implicit-def: $sgpr58_sgpr59
	s_cbranch_vccnz .LBB8_1386
; %bb.1385:                             ;   in Loop: Header=BB8_1384 Depth=2
	s_trap 2
	ds_read_b64 v[4:5], v0
	s_andn2_b64 s[56:57], s[56:57], exec
	s_mov_b32 s62, 0
	s_mov_b64 s[58:59], -1
	s_waitcnt vmcnt(0) lgkmcnt(0)
	flat_load_dword v0, v[4:5] sc0 sc1
	s_waitcnt vmcnt(0) lgkmcnt(0)
	buffer_inv sc0 sc1
	v_cmp_eq_u32_e32 vcc, 0, v0
	s_and_b64 vcc, vcc, exec
	s_or_b64 s[56:57], s[56:57], vcc
.LBB8_1386:                             ;   in Loop: Header=BB8_1384 Depth=2
	s_andn2_b64 s[54:55], s[54:55], exec
	s_and_b64 s[58:59], s[58:59], exec
	s_mov_b64 vcc, -1
	s_or_b64 s[54:55], s[54:55], s[58:59]
	s_and_saveexec_b64 s[58:59], s[56:57]
	s_cbranch_execz .LBB8_1383
; %bb.1387:                             ;   in Loop: Header=BB8_1384 Depth=2
	s_sleep 1
	s_trap 2
	ds_read_b64 v[4:5], v0
	s_andn2_b64 s[54:55], s[54:55], exec
	s_waitcnt lgkmcnt(0)
	v_cmp_ge_u64_e32 vcc, v[4:5], v[38:39]
	s_orn2_b64 vcc, vcc, exec
	s_branch .LBB8_1383
.LBB8_1388:                             ;   in Loop: Header=BB8_1255 Depth=1
	s_or_b64 exec, exec, s[50:51]
	s_and_saveexec_b64 vcc, s[52:53]
	s_xor_b64 vcc, exec, vcc
	s_cbranch_execz .LBB8_1390
; %bb.1389:                             ;   in Loop: Header=BB8_1255 Depth=1
	v_mov_b32_e32 v0, 1
	ds_write_b32 v0, v0
	s_trap 2
.LBB8_1390:                             ;   in Loop: Header=BB8_1255 Depth=1
	s_or_b64 exec, exec, s[48:49]
	;;#ASMSTART
	s_wakeup
	;;#ASMEND
.LBB8_1391:                             ;   in Loop: Header=BB8_1255 Depth=1
	s_or_b64 exec, exec, s[46:47]
.LBB8_1392:                             ;   in Loop: Header=BB8_1255 Depth=1
	s_andn2_saveexec_b64 vcc, s[44:45]
	s_cbranch_execz .LBB8_1394
; %bb.1393:                             ;   in Loop: Header=BB8_1255 Depth=1
	s_waitcnt lgkmcnt(0)
	s_barrier
.LBB8_1394:                             ;   in Loop: Header=BB8_1255 Depth=1
	s_or_b64 exec, exec, vcc
.LBB8_1395:                             ;   in Loop: Header=BB8_1255 Depth=1
	s_or_b64 exec, exec, s[42:43]
	v_and_b32_e32 v0, 16, v62
	v_cmp_ne_u32_e32 vcc, 0, v0
	s_and_b64 vcc, vcc, s[16:17]
	s_and_saveexec_b64 s[16:17], vcc
	s_cbranch_execz .LBB8_1397
; %bb.1396:                             ;   in Loop: Header=BB8_1255 Depth=1
	buffer_wbl2 sc1
	s_waitcnt vmcnt(0) lgkmcnt(0)
	buffer_inv sc1
.LBB8_1397:                             ;   in Loop: Header=BB8_1255 Depth=1
	s_or_b64 exec, exec, s[16:17]
	v_cmp_ne_u32_e32 vcc, 0, v0
	s_and_saveexec_b64 s[16:17], vcc
	s_cbranch_execz .LBB8_1401
; %bb.1398:                             ;   in Loop: Header=BB8_1255 Depth=1
	s_and_saveexec_b64 vcc, s[14:15]
	s_cbranch_execz .LBB8_1400
; %bb.1399:                             ;   in Loop: Header=BB8_1255 Depth=1
	v_accvgpr_read_b32 v4, a24
	v_accvgpr_read_b32 v5, a25
	v_mov_b32_e32 v0, 1
	flat_store_dword v[4:5], v0 sc0 sc1
.LBB8_1400:                             ;   in Loop: Header=BB8_1255 Depth=1
	s_or_b64 exec, exec, vcc
	v_accvgpr_read_b32 v4, a12
	v_accvgpr_read_b32 v6, a14
	;; [unrolled: 1-line block ×3, first 2 shown]
	v_lshl_add_u64 v[6:7], v[6:7], 0, 1
	v_accvgpr_read_b32 v5, a13
	v_accvgpr_write_b32 a15, v7
	v_accvgpr_write_b32 a14, v6
	;; [unrolled: 1-line block ×4, first 2 shown]
	flat_store_dwordx2 v[42:43], v[6:7] sc0 sc1
.LBB8_1401:                             ;   in Loop: Header=BB8_1255 Depth=1
	s_or_b64 exec, exec, s[16:17]
	v_mov_b32_e32 v0, v2
.LBB8_1402:                             ;   in Loop: Header=BB8_1255 Depth=1
	s_or_b64 exec, exec, s[40:41]
	s_and_saveexec_b64 s[40:41], s[38:39]
	s_cbranch_execz .LBB8_1254
; %bb.1403:                             ;   in Loop: Header=BB8_1255 Depth=1
	v_accvgpr_read_b32 v4, a12
	v_and_b32_e32 v3, 8, v62
	v_accvgpr_read_b32 v6, a14
	v_accvgpr_read_b32 v7, a15
	v_cmp_ne_u32_e32 vcc, 0, v3
	s_mov_b64 s[38:39], -1
	v_lshl_add_u64 v[10:11], v[6:7], 0, 1
	v_accvgpr_read_b32 v5, a13
	s_and_saveexec_b64 s[16:17], vcc
	s_cbranch_execz .LBB8_1415
; %bb.1404:                             ;   in Loop: Header=BB8_1255 Depth=1
	v_accvgpr_read_b32 v12, a12
	v_accvgpr_read_b32 v14, a14
	;; [unrolled: 1-line block ×3, first 2 shown]
	v_lshl_add_u64 v[6:7], v[46:47], 0, 8
	v_lshl_add_u64 v[4:5], v[14:15], 0, 1
	v_cmp_lt_u64_e32 vcc, v[6:7], v[4:5]
	v_mov_b32_e32 v3, 1
	v_accvgpr_read_b32 v13, a13
	s_and_saveexec_b64 s[38:39], vcc
	s_cbranch_execz .LBB8_1414
; %bb.1405:                             ;   in Loop: Header=BB8_1255 Depth=1
	s_mov_b64 s[42:43], 0
	v_mov_b32_e32 v3, 0
                                        ; implicit-def: $sgpr44_sgpr45
	s_branch .LBB8_1409
.LBB8_1406:                             ;   in Loop: Header=BB8_1409 Depth=2
	s_or_b64 exec, exec, s[52:53]
	v_mov_b32_e32 v6, 0
	s_orn2_b64 s[50:51], s[50:51], exec
.LBB8_1407:                             ;   in Loop: Header=BB8_1409 Depth=2
	s_or_b64 exec, exec, s[48:49]
	s_andn2_b64 vcc, s[44:45], exec
	s_and_b64 s[44:45], s[50:51], exec
	s_or_b64 s[44:45], vcc, s[44:45]
	v_mov_b32_e32 v3, v6
.LBB8_1408:                             ;   in Loop: Header=BB8_1409 Depth=2
	s_or_b64 exec, exec, s[46:47]
	s_waitcnt vmcnt(0) lgkmcnt(0)
	v_lshl_add_u64 v[6:7], v[46:47], 0, 8
	v_cmp_ge_u64_e32 vcc, v[6:7], v[4:5]
	s_xor_b64 s[46:47], s[44:45], -1
	s_or_b64 vcc, s[46:47], vcc
	s_and_b64 vcc, exec, vcc
	s_or_b64 s[42:43], vcc, s[42:43]
	s_andn2_b64 exec, exec, s[42:43]
	s_cbranch_execz .LBB8_1413
.LBB8_1409:                             ;   Parent Loop BB8_1255 Depth=1
                                        ; =>  This Inner Loop Header: Depth=2
	s_sleep 1
	flat_load_dwordx2 v[46:47], v[42:43] sc0 sc1
	v_and_b32_e32 v6, 64, v62
	v_cmp_eq_u32_e32 vcc, 0, v6
	s_andn2_b64 s[44:45], s[44:45], exec
	s_and_saveexec_b64 s[46:47], vcc
	s_cbranch_execz .LBB8_1408
; %bb.1410:                             ;   in Loop: Header=BB8_1409 Depth=2
	v_add_u32_e32 v6, 1, v3
	v_cmp_lt_i32_e32 vcc, s61, v3
	s_mov_b64 s[50:51], -1
	s_and_saveexec_b64 s[48:49], vcc
	s_cbranch_execz .LBB8_1407
; %bb.1411:                             ;   in Loop: Header=BB8_1409 Depth=2
	s_trap 2
	ds_read_b64 v[6:7], v0
	s_waitcnt vmcnt(0) lgkmcnt(0)
	flat_load_dword v3, v[6:7] sc0 sc1
	s_waitcnt vmcnt(0) lgkmcnt(0)
	buffer_inv sc0 sc1
	v_cmp_ne_u32_e32 vcc, 0, v3
	s_and_saveexec_b64 s[52:53], vcc
	s_cbranch_execz .LBB8_1406
; %bb.1412:                             ;   in Loop: Header=BB8_1409 Depth=2
	v_or_b32_e32 v62, 64, v62
	s_xor_b64 s[50:51], exec, -1
	ds_write_b32 v0, v3
	s_trap 2
	s_branch .LBB8_1406
.LBB8_1413:                             ;   in Loop: Header=BB8_1255 Depth=1
	s_or_b64 exec, exec, s[42:43]
	v_and_b32_e32 v3, 8, v62
.LBB8_1414:                             ;   in Loop: Header=BB8_1255 Depth=1
	s_or_b64 exec, exec, s[38:39]
	v_cmp_eq_u32_e32 vcc, 0, v3
	s_orn2_b64 s[38:39], vcc, exec
	;;#ASMSTART
	s_wakeup
	;;#ASMEND
.LBB8_1415:                             ;   in Loop: Header=BB8_1255 Depth=1
	s_or_b64 exec, exec, s[16:17]
	v_sub_u32_e32 v0, v60, v0
	s_xor_b64 s[16:17], s[38:39], -1
	v_min_i32_e32 v4, v2, v0
	s_and_saveexec_b64 s[38:39], s[16:17]
	s_cbranch_execz .LBB8_1425
; %bb.1416:                             ;   in Loop: Header=BB8_1255 Depth=1
	v_accvgpr_read_b32 v6, a12
	v_and_b32_e32 v0, 0x100, v62
	v_accvgpr_read_b32 v8, a14
	v_cmp_ne_u32_e32 vcc, 0, v0
	v_and_b32_e32 v0, 7, v8
	s_mov_b64 s[16:17], -1
	v_accvgpr_read_b32 v7, a13
                                        ; implicit-def: $vgpr8_vgpr9
	s_and_saveexec_b64 s[42:43], vcc
	s_cbranch_execz .LBB8_1420
; %bb.1417:                             ;   in Loop: Header=BB8_1255 Depth=1
	v_accvgpr_read_b32 v2, a12
	v_accvgpr_read_b32 v3, a13
	v_mad_u64_u32 v[12:13], s[16:17], v0, 24, v[2:3]
	flat_load_dword v6, v[12:13]
	v_ashrrev_i32_e32 v5, 31, v4
	v_lshlrev_b64 v[2:3], 1, v[4:5]
	flat_store_dwordx2 v[12:13], v[2:3] offset:8
                                        ; implicit-def: $vgpr8_vgpr9
	s_waitcnt vmcnt(0) lgkmcnt(0)
	v_cmp_ne_u32_e32 vcc, 1, v6
	v_cmp_eq_u32_e64 s[16:17], 1, v6
	s_and_saveexec_b64 s[44:45], s[16:17]
	s_cbranch_execz .LBB8_1419
; %bb.1418:                             ;   in Loop: Header=BB8_1255 Depth=1
	flat_load_dword v2, v[12:13] offset:4 sc0 sc1
	s_waitcnt vmcnt(0) lgkmcnt(0)
	v_ashrrev_i32_e32 v3, 31, v2
	v_lshrrev_b64 v[8:9], 1, v[2:3]
.LBB8_1419:                             ;   in Loop: Header=BB8_1255 Depth=1
	s_or_b64 exec, exec, s[44:45]
	s_orn2_b64 s[16:17], vcc, exec
.LBB8_1420:                             ;   in Loop: Header=BB8_1255 Depth=1
	s_or_b64 exec, exec, s[42:43]
	s_and_saveexec_b64 vcc, s[16:17]
; %bb.1421:                             ;   in Loop: Header=BB8_1255 Depth=1
	v_accvgpr_read_b32 v2, a16
	v_mad_i64_i32 v[8:9], s[16:17], v0, v2, 0
; %bb.1422:                             ;   in Loop: Header=BB8_1255 Depth=1
	s_or_b64 exec, exec, vcc
	v_accvgpr_read_b32 v2, a18
	v_accvgpr_read_b32 v3, a19
	v_lshl_add_u64 v[2:3], v[8:9], 1, v[2:3]
	ds_write_b64 v0, v[2:3] offset:784
	v_and_b32_e32 v0, 0x2000, v62
	v_cmp_ne_u32_e32 vcc, 0, v0
	s_and_saveexec_b64 s[16:17], vcc
	s_cbranch_execz .LBB8_1424
; %bb.1423:                             ;   in Loop: Header=BB8_1255 Depth=1
	ds_read_b64 v[2:3], v0 offset:584
	s_waitcnt lgkmcnt(0)
	v_lshl_add_u64 v[2:3], v[2:3], 0, 1
	ds_write_b64 v0, v[2:3] offset:584
.LBB8_1424:                             ;   in Loop: Header=BB8_1255 Depth=1
	s_or_b64 exec, exec, s[16:17]
	v_accvgpr_write_b32 a15, v11
	v_accvgpr_write_b32 a14, v10
.LBB8_1425:                             ;   in Loop: Header=BB8_1255 Depth=1
	s_or_b64 exec, exec, s[38:39]
	s_and_saveexec_b64 s[16:17], s[4:5]
	s_cbranch_execz .LBB8_1444
; %bb.1426:                             ;   in Loop: Header=BB8_1255 Depth=1
	s_and_saveexec_b64 vcc, s[26:27]
	s_xor_b64 s[38:39], exec, vcc
	s_cbranch_execz .LBB8_1441
; %bb.1427:                             ;   in Loop: Header=BB8_1255 Depth=1
	s_and_saveexec_b64 s[42:43], s[6:7]
	s_cbranch_execz .LBB8_1440
; %bb.1428:                             ;   in Loop: Header=BB8_1255 Depth=1
	s_mov_b64 s[46:47], exec
	v_mbcnt_lo_u32_b32 v0, s46, 0
	v_mbcnt_hi_u32_b32 v0, s47, v0
	v_cmp_eq_u32_e32 vcc, 0, v0
	s_waitcnt lgkmcnt(0)
	s_and_saveexec_b64 s[44:45], vcc
	s_cbranch_execz .LBB8_1430
; %bb.1429:                             ;   in Loop: Header=BB8_1255 Depth=1
	s_bcnt1_i32_b64 vcc_lo, s[46:47]
	v_mov_b32_e32 v0, vcc_lo
	ds_add_u64 v0, v[0:1]
	s_trap 2
.LBB8_1430:                             ;   in Loop: Header=BB8_1255 Depth=1
	s_or_b64 exec, exec, s[44:45]
	s_trap 2
	ds_read_b64 v[2:3], v0
	v_lshl_add_u64 v[38:39], v[38:39], 0, v[30:31]
	s_waitcnt lgkmcnt(0)
	v_cmp_lt_u64_e32 vcc, v[2:3], v[38:39]
	s_and_saveexec_b64 s[44:45], vcc
	s_cbranch_execz .LBB8_1439
; %bb.1431:                             ;   in Loop: Header=BB8_1255 Depth=1
	s_mov_b32 s56, 0
	s_mov_b64 s[46:47], 0
                                        ; implicit-def: $sgpr48_sgpr49
                                        ; implicit-def: $sgpr50_sgpr51
	s_branch .LBB8_1433
.LBB8_1432:                             ;   in Loop: Header=BB8_1433 Depth=2
	s_or_b64 exec, exec, s[54:55]
	s_and_b64 vcc, exec, vcc
	s_or_b64 s[46:47], vcc, s[46:47]
	s_andn2_b64 vcc, s[48:49], exec
	s_and_b64 s[48:49], s[50:51], exec
	s_or_b64 s[48:49], vcc, s[48:49]
	s_andn2_b64 exec, exec, s[46:47]
	s_cbranch_execz .LBB8_1437
.LBB8_1433:                             ;   Parent Loop BB8_1255 Depth=1
                                        ; =>  This Inner Loop Header: Depth=2
	s_add_i32 s56, s56, 1
	s_cmpk_lg_i32 s56, 0x2710
	s_cselect_b64 s[52:53], -1, 0
	s_and_b64 vcc, exec, s[52:53]
                                        ; implicit-def: $sgpr54_sgpr55
	s_cbranch_vccnz .LBB8_1435
; %bb.1434:                             ;   in Loop: Header=BB8_1433 Depth=2
	s_trap 2
	ds_read_b64 v[2:3], v0
	s_andn2_b64 s[52:53], s[52:53], exec
	s_mov_b32 s56, 0
	s_mov_b64 s[54:55], -1
	s_waitcnt vmcnt(0) lgkmcnt(0)
	flat_load_dword v0, v[2:3] sc0 sc1
	s_waitcnt vmcnt(0) lgkmcnt(0)
	buffer_inv sc0 sc1
	v_cmp_eq_u32_e32 vcc, 0, v0
	s_and_b64 vcc, vcc, exec
	s_or_b64 s[52:53], s[52:53], vcc
.LBB8_1435:                             ;   in Loop: Header=BB8_1433 Depth=2
	s_andn2_b64 s[50:51], s[50:51], exec
	s_and_b64 s[54:55], s[54:55], exec
	s_mov_b64 vcc, -1
	s_or_b64 s[50:51], s[50:51], s[54:55]
	s_and_saveexec_b64 s[54:55], s[52:53]
	s_cbranch_execz .LBB8_1432
; %bb.1436:                             ;   in Loop: Header=BB8_1433 Depth=2
	s_sleep 1
	s_trap 2
	ds_read_b64 v[2:3], v0
	s_andn2_b64 s[50:51], s[50:51], exec
	s_waitcnt lgkmcnt(0)
	v_cmp_ge_u64_e32 vcc, v[2:3], v[38:39]
	s_orn2_b64 vcc, vcc, exec
	s_branch .LBB8_1432
.LBB8_1437:                             ;   in Loop: Header=BB8_1255 Depth=1
	s_or_b64 exec, exec, s[46:47]
	s_and_saveexec_b64 vcc, s[48:49]
	s_xor_b64 vcc, exec, vcc
	s_cbranch_execz .LBB8_1439
; %bb.1438:                             ;   in Loop: Header=BB8_1255 Depth=1
	v_mov_b32_e32 v0, 1
	ds_write_b32 v0, v0
	s_trap 2
.LBB8_1439:                             ;   in Loop: Header=BB8_1255 Depth=1
	s_or_b64 exec, exec, s[44:45]
	;;#ASMSTART
	s_wakeup
	;;#ASMEND
.LBB8_1440:                             ;   in Loop: Header=BB8_1255 Depth=1
	s_or_b64 exec, exec, s[42:43]
.LBB8_1441:                             ;   in Loop: Header=BB8_1255 Depth=1
	s_andn2_saveexec_b64 vcc, s[38:39]
	s_cbranch_execz .LBB8_1443
; %bb.1442:                             ;   in Loop: Header=BB8_1255 Depth=1
	s_waitcnt lgkmcnt(0)
	s_barrier
.LBB8_1443:                             ;   in Loop: Header=BB8_1255 Depth=1
	s_or_b64 exec, exec, vcc
.LBB8_1444:                             ;   in Loop: Header=BB8_1255 Depth=1
	s_or_b64 exec, exec, s[16:17]
	s_trap 2
	ds_read_b32 v2, v0
	v_cmp_lt_i32_e32 vcc, 0, v4
	v_and_b32_e32 v0, 16, v62
	s_waitcnt lgkmcnt(0)
	v_readfirstlane_b32 s16, v2
	s_cmp_eq_u32 s16, 0
	s_cselect_b64 s[16:17], -1, 0
	s_and_b64 s[16:17], vcc, s[16:17]
	v_cmp_ne_u32_e32 vcc, 0, v0
	s_and_b64 vcc, vcc, s[16:17]
	s_and_saveexec_b64 s[16:17], vcc
	s_cbranch_execz .LBB8_1446
; %bb.1445:                             ;   in Loop: Header=BB8_1255 Depth=1
	buffer_wbl2 sc1
	s_waitcnt vmcnt(0)
	buffer_inv sc1
.LBB8_1446:                             ;   in Loop: Header=BB8_1255 Depth=1
	s_or_b64 exec, exec, s[16:17]
	v_cmp_ne_u32_e32 vcc, 0, v0
	s_and_saveexec_b64 s[16:17], vcc
	s_cbranch_execz .LBB8_1253
; %bb.1447:                             ;   in Loop: Header=BB8_1255 Depth=1
	s_and_saveexec_b64 vcc, s[14:15]
	s_cbranch_execz .LBB8_1252
; %bb.1448:                             ;   in Loop: Header=BB8_1255 Depth=1
	v_accvgpr_read_b32 v2, a24
	v_accvgpr_read_b32 v3, a25
	v_mov_b32_e32 v0, 1
	flat_store_dword v[2:3], v0 sc0 sc1
	s_branch .LBB8_1252
.LBB8_1449:
	s_or_b64 exec, exec, s[22:23]
	v_accvgpr_read_b32 v51, a15
	v_accvgpr_read_b32 v29, a0
	;; [unrolled: 1-line block ×6, first 2 shown]
.LBB8_1450:
	s_or_b64 exec, exec, s[20:21]
.LBB8_1451:
	s_or_b64 exec, exec, s[18:19]
	v_and_b32_e32 v0, 0x800, v62
	v_cmp_eq_u32_e32 vcc, 0, v0
	s_and_saveexec_b64 s[0:1], vcc
	s_cbranch_execz .LBB8_1486
; %bb.1452:
	v_and_b32_e32 v0, 48, v62
	v_cmp_ne_u32_e32 vcc, 0, v0
	s_and_saveexec_b64 s[2:3], vcc
	s_cbranch_execz .LBB8_1454
; %bb.1453:
	s_waitcnt vmcnt(0) lgkmcnt(0)
	flat_store_dwordx2 v[36:37], v[50:51] offset:104
.LBB8_1454:
	s_or_b64 exec, exec, s[2:3]
	s_movk_i32 s2, 0x88
	v_and_b32_e32 v0, 0x88, v62
	v_cmp_eq_u32_e32 vcc, s2, v0
	s_and_saveexec_b64 s[2:3], vcc
	s_cbranch_execz .LBB8_1466
; %bb.1455:
	s_waitcnt vmcnt(0) lgkmcnt(0)
	v_add_u32_e32 v0, -1, v50
	v_and_b32_e32 v0, 7, v0
	v_mad_u64_u32 v[0:1], s[4:5], v0, 24, v[48:49]
	v_lshl_add_u64 v[0:1], v[0:1], 0, 8
	s_mov_b64 s[4:5], 0
	v_mov_b32_e32 v2, 0
	s_movk_i32 s20, 0x270e
                                        ; implicit-def: $sgpr6_sgpr7
	s_branch .LBB8_1460
.LBB8_1456:                             ;   in Loop: Header=BB8_1460 Depth=1
	s_or_b64 exec, exec, s[18:19]
	v_mov_b32_e32 v3, 0
	s_orn2_b64 s[16:17], s[16:17], exec
.LBB8_1457:                             ;   in Loop: Header=BB8_1460 Depth=1
	s_or_b64 exec, exec, s[14:15]
	s_and_b64 s[14:15], s[16:17], exec
	v_mov_b32_e32 v2, v3
.LBB8_1458:                             ;   in Loop: Header=BB8_1460 Depth=1
	s_or_b64 exec, exec, s[12:13]
	s_xor_b64 s[12:13], s[14:15], -1
	s_andn2_b64 s[6:7], s[6:7], exec
	s_and_b64 s[12:13], s[12:13], exec
	s_or_b64 s[6:7], s[6:7], s[12:13]
.LBB8_1459:                             ;   in Loop: Header=BB8_1460 Depth=1
	s_or_b64 exec, exec, s[10:11]
	s_and_b64 s[10:11], exec, s[6:7]
	s_or_b64 s[4:5], s[10:11], s[4:5]
	s_andn2_b64 exec, exec, s[4:5]
	s_cbranch_execz .LBB8_1465
.LBB8_1460:                             ; =>This Inner Loop Header: Depth=1
	flat_load_dwordx2 v[4:5], v[0:1] sc0 sc1
	s_waitcnt vmcnt(0)
	s_or_b64 s[6:7], s[6:7], exec
	s_waitcnt lgkmcnt(0)
	v_cmp_ne_u64_e32 vcc, -1, v[4:5]
	s_and_saveexec_b64 s[10:11], vcc
	s_cbranch_execz .LBB8_1459
; %bb.1461:                             ;   in Loop: Header=BB8_1460 Depth=1
	v_and_b32_e32 v3, 64, v62
	v_cmp_eq_u32_e32 vcc, 0, v3
	s_mov_b64 s[14:15], 0
	s_and_saveexec_b64 s[12:13], vcc
	s_cbranch_execz .LBB8_1458
; %bb.1462:                             ;   in Loop: Header=BB8_1460 Depth=1
	v_add_u32_e32 v3, 1, v2
	v_cmp_lt_i32_e32 vcc, s20, v2
	s_mov_b64 s[16:17], -1
	s_and_saveexec_b64 s[14:15], vcc
	s_cbranch_execz .LBB8_1457
; %bb.1463:                             ;   in Loop: Header=BB8_1460 Depth=1
	s_trap 2
	ds_read_b64 v[2:3], v0
	s_waitcnt lgkmcnt(0)
	flat_load_dword v2, v[2:3] sc0 sc1
	s_waitcnt vmcnt(0) lgkmcnt(0)
	buffer_inv sc0 sc1
	v_cmp_ne_u32_e32 vcc, 0, v2
	s_and_saveexec_b64 s[18:19], vcc
	s_cbranch_execz .LBB8_1456
; %bb.1464:                             ;   in Loop: Header=BB8_1460 Depth=1
	v_or_b32_e32 v62, 64, v62
	s_xor_b64 s[16:17], exec, -1
	ds_write_b32 v0, v2
	s_trap 2
	s_branch .LBB8_1456
.LBB8_1465:
	s_or_b64 exec, exec, s[4:5]
.LBB8_1466:
	s_or_b64 exec, exec, s[2:3]
	v_and_b32_e32 v0, 0x2000, v62
	v_cmp_ne_u32_e32 vcc, 0, v0
	s_and_saveexec_b64 s[2:3], vcc
	s_cbranch_execz .LBB8_1468
; %bb.1467:
	s_trap 2
	ds_read_b64 v[0:1], v0
	v_accvgpr_read_b32 v2, a8
	v_accvgpr_read_b32 v3, a9
	s_waitcnt lgkmcnt(0)
	flat_store_dwordx2 v[2:3], v[0:1] offset:16
.LBB8_1468:
	s_or_b64 exec, exec, s[2:3]
	v_cmp_ne_u32_e32 vcc, 64, v29
	s_and_b64 exec, exec, vcc
	s_cbranch_execz .LBB8_1486
; %bb.1469:
	s_waitcnt vmcnt(0)
	v_accvgpr_read_b32 v0, a2
	v_cmp_ne_u32_sdwa s[2:3], v0, v29 src0_sel:WORD_0 src1_sel:DWORD
	s_and_saveexec_b64 s[4:5], s[2:3]
	s_xor_b64 s[2:3], exec, s[4:5]
	s_cbranch_execz .LBB8_1484
; %bb.1470:
	v_and_b32_e32 v0, 63, v31
	v_cmp_eq_u32_e32 vcc, 0, v0
	s_and_saveexec_b64 s[4:5], vcc
	s_cbranch_execz .LBB8_1483
; %bb.1471:
	s_mov_b64 s[10:11], exec
	v_mbcnt_lo_u32_b32 v0, s10, 0
	v_mbcnt_hi_u32_b32 v0, s11, v0
	v_cmp_eq_u32_e32 vcc, 0, v0
	s_waitcnt lgkmcnt(0)
	s_and_saveexec_b64 s[6:7], vcc
	s_cbranch_execz .LBB8_1473
; %bb.1472:
	s_bcnt1_i32_b64 s10, s[10:11]
	v_mov_b32_e32 v0, s10
	v_mov_b32_e32 v1, 0
	ds_add_u64 v0, v[0:1]
	s_trap 2
.LBB8_1473:
	s_or_b64 exec, exec, s[6:7]
	v_ashrrev_i32_e32 v0, 31, v29
	v_lshrrev_b32_e32 v0, 26, v0
	s_trap 2
	ds_read_b64 v[2:3], v0
	v_add_u32_e32 v0, v29, v0
	v_ashrrev_i32_e32 v0, 6, v0
	v_ashrrev_i32_e32 v1, 31, v0
	v_lshl_add_u64 v[0:1], v[38:39], 0, v[0:1]
	s_waitcnt lgkmcnt(0)
	v_cmp_lt_u64_e32 vcc, v[2:3], v[0:1]
	s_and_saveexec_b64 s[6:7], vcc
	s_cbranch_execz .LBB8_1482
; %bb.1474:
	s_mov_b32 s22, 0
	s_mov_b64 s[10:11], 0
                                        ; implicit-def: $sgpr12_sgpr13
                                        ; implicit-def: $sgpr14_sgpr15
	s_branch .LBB8_1476
.LBB8_1475:                             ;   in Loop: Header=BB8_1476 Depth=1
	s_or_b64 exec, exec, s[20:21]
	s_and_b64 s[16:17], exec, s[18:19]
	s_or_b64 s[10:11], s[16:17], s[10:11]
	s_andn2_b64 s[12:13], s[12:13], exec
	s_and_b64 s[16:17], s[14:15], exec
	s_or_b64 s[12:13], s[12:13], s[16:17]
	s_andn2_b64 exec, exec, s[10:11]
	s_cbranch_execz .LBB8_1480
.LBB8_1476:                             ; =>This Inner Loop Header: Depth=1
	s_add_i32 s22, s22, 1
	s_cmpk_lg_i32 s22, 0x2710
	s_cselect_b64 s[16:17], -1, 0
	s_and_b64 vcc, exec, s[16:17]
                                        ; implicit-def: $sgpr20_sgpr21
	s_cbranch_vccnz .LBB8_1478
; %bb.1477:                             ;   in Loop: Header=BB8_1476 Depth=1
	s_trap 2
	ds_read_b64 v[2:3], v0
	s_andn2_b64 s[16:17], s[16:17], exec
	s_mov_b32 s22, 0
	s_mov_b64 s[20:21], -1
	s_waitcnt lgkmcnt(0)
	flat_load_dword v2, v[2:3] sc0 sc1
	s_waitcnt vmcnt(0) lgkmcnt(0)
	buffer_inv sc0 sc1
	v_cmp_eq_u32_e32 vcc, 0, v2
	s_and_b64 s[18:19], vcc, exec
	s_or_b64 s[16:17], s[16:17], s[18:19]
.LBB8_1478:                             ;   in Loop: Header=BB8_1476 Depth=1
	s_andn2_b64 s[14:15], s[14:15], exec
	s_and_b64 s[20:21], s[20:21], exec
	s_mov_b64 s[18:19], -1
	s_or_b64 s[14:15], s[14:15], s[20:21]
	s_and_saveexec_b64 s[20:21], s[16:17]
	s_cbranch_execz .LBB8_1475
; %bb.1479:                             ;   in Loop: Header=BB8_1476 Depth=1
	s_sleep 1
	s_trap 2
	ds_read_b64 v[2:3], v0
	s_andn2_b64 s[14:15], s[14:15], exec
	s_waitcnt lgkmcnt(0)
	v_cmp_ge_u64_e32 vcc, v[2:3], v[0:1]
	s_orn2_b64 s[18:19], vcc, exec
	s_branch .LBB8_1475
.LBB8_1480:
	s_or_b64 exec, exec, s[10:11]
	s_and_saveexec_b64 s[10:11], s[12:13]
	s_xor_b64 s[10:11], exec, s[10:11]
	s_cbranch_execz .LBB8_1482
; %bb.1481:
	v_mov_b32_e32 v0, 1
	ds_write_b32 v0, v0
	s_trap 2
.LBB8_1482:
	s_or_b64 exec, exec, s[6:7]
	;;#ASMSTART
	s_wakeup
	;;#ASMEND
.LBB8_1483:
	s_or_b64 exec, exec, s[4:5]
.LBB8_1484:
	s_andn2_saveexec_b64 s[2:3], s[2:3]
	s_cbranch_execz .LBB8_1486
; %bb.1485:
	s_waitcnt lgkmcnt(0)
	s_barrier
.LBB8_1486:
	s_or_b64 exec, exec, s[0:1]
.LBB8_1487:
	s_andn2_saveexec_b64 s[22:23], s[24:25]
	s_cbranch_execz .LBB8_1489
; %bb.1488:
	s_getpc_b64 s[0:1]
	s_add_u32 s0, s0, __PRETTY_FUNCTION__._ZN10PrimitivesI12hip_bfloat168FuncProdIS0_E12FanSymmetricILi1EELi0E11ProtoSimpleILi1ELi1ELi0ELi2ELi0ELi0EELi0ELb0ELi0ELi1ELi0EEC2EiiPKiS9_PKvPvmhhhP15ncclDevWorkCollP14ncclDevWorkP2pii@rel32@lo+4
	s_addc_u32 s1, s1, __PRETTY_FUNCTION__._ZN10PrimitivesI12hip_bfloat168FuncProdIS0_E12FanSymmetricILi1EELi0E11ProtoSimpleILi1ELi1ELi0ELi2ELi0ELi0EELi0ELb0ELi0ELi1ELi0EEC2EiiPKiS9_PKvPvmhhhP15ncclDevWorkCollP14ncclDevWorkP2pii@rel32@hi+12
	v_mov_b32_e32 v0, s0
	v_mov_b32_e32 v1, s1
	s_getpc_b64 s[2:3]
	s_add_u32 s2, s2, __assert_fail@rel32@lo+4
	s_addc_u32 s3, s3, __assert_fail@rel32@hi+12
	s_swappc_b64 s[30:31], s[2:3]
	; divergent unreachable
.LBB8_1489:
	s_or_b64 exec, exec, s[22:23]
	scratch_load_dword a49, off, s33        ; 4-byte Folded Reload
	scratch_load_dword a48, off, s33 offset:4 ; 4-byte Folded Reload
	scratch_load_dword a47, off, s33 offset:8 ; 4-byte Folded Reload
	;; [unrolled: 1-line block ×3, first 2 shown]
	s_waitcnt lgkmcnt(0)
	scratch_load_dword a45, off, s33 offset:16 ; 4-byte Folded Reload
	scratch_load_dword a44, off, s33 offset:20 ; 4-byte Folded Reload
	;; [unrolled: 1-line block ×29, first 2 shown]
	v_readlane_b32 s30, v63, 39
	v_readlane_b32 s31, v63, 40
	;; [unrolled: 1-line block ×42, first 2 shown]
	s_or_saveexec_b64 s[2:3], -1
	scratch_load_dword v63, off, s33 offset:208 ; 4-byte Folded Reload
	s_mov_b64 exec, s[2:3]
	s_addk_i32 s32, 0xff20
	s_mov_b32 s33, s0
	s_waitcnt vmcnt(0)
	s_setpc_b64 s[30:31]
.Lfunc_end8:
	.size	_ZN12_GLOBAL__N_17runRingI12hip_bfloat168FuncProdIS1_E11ProtoSimpleILi1ELi1ELi0ELi2ELi0ELi0EELi0ELi2ELi1EEEviiP15ncclDevWorkColl, .Lfunc_end8-_ZN12_GLOBAL__N_17runRingI12hip_bfloat168FuncProdIS1_E11ProtoSimpleILi1ELi1ELi0ELi2ELi0ELi0EELi0ELi2ELi1EEEviiP15ncclDevWorkColl
                                        ; -- End function
	.section	.AMDGPU.csdata,"",@progbits
; Function info:
; codeLenInByte = 44740
; NumSgprs: 79
; NumVgprs: 64
; NumAgprs: 50
; TotalNumVgprs: 114
; ScratchSize: 288
; MemoryBound: 1
	.text
	.p2align	2                               ; -- Begin function _Z46ncclDevFunc_Reduce_RING_SIMPLE_Prod_bf16_0_1_2v
	.type	_Z46ncclDevFunc_Reduce_RING_SIMPLE_Prod_bf16_0_1_2v,@function
_Z46ncclDevFunc_Reduce_RING_SIMPLE_Prod_bf16_0_1_2v: ; @_Z46ncclDevFunc_Reduce_RING_SIMPLE_Prod_bf16_0_1_2v
; %bb.0:
	s_waitcnt vmcnt(0) expcnt(0) lgkmcnt(0)
	s_mov_b32 s0, s33
	s_mov_b32 s33, s32
	s_or_saveexec_b64 s[2:3], -1
	scratch_store_dword off, v43, s33 offset:16 ; 4-byte Folded Spill
	s_mov_b64 exec, s[2:3]
	v_writelane_b32 v43, s0, 49
	s_add_i32 s32, s32, 32
	scratch_store_dword off, v40, s33 offset:12 ; 4-byte Folded Spill
	scratch_store_dword off, v41, s33 offset:8 ; 4-byte Folded Spill
	;; [unrolled: 1-line block ×3, first 2 shown]
	scratch_store_dword off, v63, s33       ; 4-byte Folded Spill
	v_writelane_b32 v43, s34, 0
	v_writelane_b32 v43, s35, 1
	;; [unrolled: 1-line block ×48, first 2 shown]
	s_nop 1
	v_writelane_b32 v43, s31, 48
	s_trap 2
	ds_read_b32 v0, v0
	v_mov_b32_e32 v40, v31
	s_mov_b32 s73, s12
	s_mov_b64 s[74:75], s[8:9]
	s_waitcnt lgkmcnt(0)
	v_cmp_gt_i32_e32 vcc, 1, v0
	s_cbranch_vccnz .LBB9_8
; %bb.1:
	s_mov_b32 s80, 0
	v_and_b32_e32 v41, 0x3ff, v40
	s_mov_b64 s[76:77], src_shared_base
	v_mov_b32_e32 v42, 6
	s_branch .LBB9_3
.LBB9_2:                                ;   in Loop: Header=BB9_3 Depth=1
	s_or_b64 exec, exec, s[78:79]
	s_trap 2
	ds_read_b32 v0, v0
	s_add_i32 s80, s80, 1
	s_waitcnt lgkmcnt(0)
	v_cmp_lt_i32_e32 vcc, s80, v0
	s_cbranch_vccz .LBB9_8
.LBB9_3:                                ; =>This Inner Loop Header: Depth=1
	s_trap 2
	ds_read_b32 v0, v0
	s_cmp_eq_u32 s80, 0
	s_cbranch_scc1 .LBB9_6
; %bb.4:                                ;   in Loop: Header=BB9_3 Depth=1
	s_trap 2
	s_waitcnt lgkmcnt(0)
	ds_read_b32 v1, v0
	s_waitcnt lgkmcnt(0)
	v_xor_b32_e32 v1, v1, v0
	v_and_b32_e32 v1, 0xff0000, v1
	v_cmp_eq_u32_e32 vcc, 0, v1
	s_cbranch_vccnz .LBB9_6
; %bb.5:                                ;   in Loop: Header=BB9_3 Depth=1
	s_barrier
	ds_read_b32 v0, v0
.LBB9_6:                                ;   in Loop: Header=BB9_3 Depth=1
	s_waitcnt lgkmcnt(0)
	v_lshlrev_b32_sdwa v1, v42, v0 dst_sel:DWORD dst_unused:UNUSED_PAD src0_sel:DWORD src1_sel:BYTE_2
	v_cmp_lt_u32_e32 vcc, v41, v1
	s_and_saveexec_b64 s[78:79], vcc
	s_cbranch_execz .LBB9_2
; %bb.7:                                ;   in Loop: Header=BB9_3 Depth=1
	s_mov_b64 s[8:9], s[74:75]
	s_mov_b32 s12, s73
	v_mov_b32_e32 v31, v40
	v_mov_b32_e32 v0, v41
	;; [unrolled: 1-line block ×3, first 2 shown]
	s_getpc_b64 s[0:1]
	s_add_u32 s0, s0, _ZN12_GLOBAL__N_17runRingI12hip_bfloat168FuncProdIS1_E11ProtoSimpleILi1ELi1ELi0ELi2ELi0ELi0EELi0ELi2ELi1EEEviiP15ncclDevWorkColl@rel32@lo+4
	s_addc_u32 s1, s1, _ZN12_GLOBAL__N_17runRingI12hip_bfloat168FuncProdIS1_E11ProtoSimpleILi1ELi1ELi0ELi2ELi0ELi0EELi0ELi2ELi1EEEviiP15ncclDevWorkColl@rel32@hi+12
	s_swappc_b64 s[30:31], s[0:1]
	s_branch .LBB9_2
.LBB9_8:
	scratch_load_dword v63, off, s33        ; 4-byte Folded Reload
	scratch_load_dword v42, off, s33 offset:4 ; 4-byte Folded Reload
	scratch_load_dword v41, off, s33 offset:8 ; 4-byte Folded Reload
	;; [unrolled: 1-line block ×3, first 2 shown]
	v_readlane_b32 s30, v43, 47
	v_readlane_b32 s31, v43, 48
	;; [unrolled: 1-line block ×50, first 2 shown]
	s_or_saveexec_b64 s[2:3], -1
	scratch_load_dword v43, off, s33 offset:16 ; 4-byte Folded Reload
	s_mov_b64 exec, s[2:3]
	s_addk_i32 s32, 0xffe0
	s_mov_b32 s33, s0
	s_waitcnt vmcnt(0)
	s_setpc_b64 s[30:31]
.Lfunc_end9:
	.size	_Z46ncclDevFunc_Reduce_RING_SIMPLE_Prod_bf16_0_1_2v, .Lfunc_end9-_Z46ncclDevFunc_Reduce_RING_SIMPLE_Prod_bf16_0_1_2v
                                        ; -- End function
	.section	.AMDGPU.csdata,"",@progbits
; Function info:
; codeLenInByte = 1168
; NumSgprs: 87
; NumVgprs: 64
; NumAgprs: 50
; TotalNumVgprs: 114
; ScratchSize: 320
; MemoryBound: 0
	.text
	.p2align	2                               ; -- Begin function _ZN12_GLOBAL__N_17runRingI12hip_bfloat168FuncProdIS1_E11ProtoSimpleILi1ELi1ELi0ELi4ELi0ELi0EELi0ELi4ELi0EEEviiP15ncclDevWorkColl
	.type	_ZN12_GLOBAL__N_17runRingI12hip_bfloat168FuncProdIS1_E11ProtoSimpleILi1ELi1ELi0ELi4ELi0ELi0EELi0ELi4ELi0EEEviiP15ncclDevWorkColl,@function
_ZN12_GLOBAL__N_17runRingI12hip_bfloat168FuncProdIS1_E11ProtoSimpleILi1ELi1ELi0ELi4ELi0ELi0EELi0ELi4ELi0EEEviiP15ncclDevWorkColl: ; @_ZN12_GLOBAL__N_17runRingI12hip_bfloat168FuncProdIS1_E11ProtoSimpleILi1ELi1ELi0ELi4ELi0ELi0EELi0ELi4ELi0EEEviiP15ncclDevWorkColl
; %bb.0:
	s_waitcnt vmcnt(0) expcnt(0) lgkmcnt(0)
	s_mov_b32 s0, s33
	s_mov_b32 s33, s32
	s_or_saveexec_b64 s[2:3], -1
	scratch_store_dword off, v63, s33 offset:100 ; 4-byte Folded Spill
	s_mov_b64 exec, s[2:3]
	v_writelane_b32 v63, s0, 37
	s_addk_i32 s32, 0x70
	scratch_store_dword off, v40, s33 offset:96 ; 4-byte Folded Spill
	scratch_store_dword off, v41, s33 offset:92 ; 4-byte Folded Spill
	;; [unrolled: 1-line block ×24, first 2 shown]
	scratch_store_dword off, a41, s33       ; 4-byte Folded Spill
	v_writelane_b32 v63, s34, 0
	v_writelane_b32 v63, s35, 1
	;; [unrolled: 1-line block ×36, first 2 shown]
	s_nop 1
	v_writelane_b32 v63, s31, 36
	v_mov_b32_e32 v42, v1
	v_mov_b32_e32 v58, v0
	s_trap 2
	ds_read_b64 v[0:1], v0
                                        ; implicit-def: $vgpr16_vgpr17
                                        ; implicit-def: $vgpr54_vgpr55
                                        ; implicit-def: $vgpr40_vgpr41
	s_waitcnt lgkmcnt(0)
	v_ashrrev_i32_e32 v5, 31, v1
	v_mov_b32_e32 v4, v1
	v_lshlrev_b64 v[4:5], 2, v[4:5]
	v_lshl_add_u64 v[4:5], v[0:1], 0, v[4:5]
	v_add_co_u32_e32 v4, vcc, -4, v4
	ds_read_b32 v6, v0
	flat_load_ushort v15, v[2:3] offset:8
	flat_load_dwordx2 v[8:9], v[2:3]
	v_addc_co_u32_e32 v5, vcc, -1, v5, vcc
	flat_load_dword v1, v[4:5]
	s_waitcnt vmcnt(0) lgkmcnt(0)
	v_mov_b32_e32 v14, v9
	v_cmp_ne_u32_sdwa s[0:1], v8, v6 src0_sel:BYTE_0 src1_sel:DWORD
	s_and_saveexec_b64 s[2:3], s[0:1]
	s_xor_b64 s[0:1], exec, s[2:3]
	s_cbranch_execz .LBB10_6
; %bb.1:
	v_not_b32_sdwa v9, v8 dst_sel:DWORD dst_unused:UNUSED_PAD src0_sel:BYTE_0
	v_cmp_ne_u32_sdwa s[2:3], v8, v6 src0_sel:BYTE_1 src1_sel:DWORD
                                        ; implicit-def: $vgpr16_vgpr17
                                        ; implicit-def: $vgpr54_vgpr55
                                        ; implicit-def: $vgpr40_vgpr41
	s_and_saveexec_b64 s[4:5], s[2:3]
	s_xor_b64 s[2:3], exec, s[4:5]
	s_cbranch_execz .LBB10_3
; %bb.2:
	flat_load_dwordx4 v[10:13], v[2:3] offset:72
	flat_load_dwordx2 v[4:5], v[2:3] offset:96
	v_add_u32_e32 v6, v6, v9
	v_ashrrev_i32_e32 v7, 31, v6
                                        ; implicit-def: $vgpr8
                                        ; implicit-def: $vgpr9
	s_waitcnt vmcnt(0) lgkmcnt(0)
	v_mul_lo_u32 v7, v12, v7
	v_mad_u64_u32 v[40:41], s[4:5], v12, v6, v[10:11]
	v_mul_lo_u32 v6, v13, v6
	v_lshrrev_b64 v[16:17], 13, v[4:5]
	v_add3_u32 v41, v6, v41, v7
	v_mov_b64_e32 v[54:55], v[12:13]
.LBB10_3:
	s_andn2_saveexec_b64 s[2:3], s[2:3]
	s_cbranch_execz .LBB10_5
; %bb.4:
	flat_load_dwordx4 v[10:13], v[2:3] offset:72
	flat_load_dwordx4 v[54:57], v[2:3] offset:88
	v_add_u32_sdwa v4, v8, v9 dst_sel:DWORD dst_unused:UNUSED_PAD src0_sel:BYTE_1 src1_sel:DWORD
	v_ashrrev_i32_e32 v5, 31, v4
	s_waitcnt vmcnt(0) lgkmcnt(0)
	v_mul_lo_u32 v5, v12, v5
	v_mad_u64_u32 v[40:41], s[4:5], v12, v4, v[10:11]
	v_mul_lo_u32 v4, v13, v4
	v_add3_u32 v41, v4, v41, v5
	v_lshrrev_b32_e32 v16, 2, v57
.LBB10_5:
	s_or_b64 exec, exec, s[2:3]
.LBB10_6:
	s_andn2_saveexec_b64 s[0:1], s[0:1]
	s_cbranch_execz .LBB10_8
; %bb.7:
	flat_load_dwordx2 v[4:5], v[2:3] offset:96
	flat_load_dwordx2 v[54:55], v[2:3] offset:72
	v_mov_b64_e32 v[40:41], 0
	s_waitcnt vmcnt(0) lgkmcnt(0)
	v_lshlrev_b64 v[16:17], 8, v[4:5]
.LBB10_8:
	s_or_b64 exec, exec, s[0:1]
	s_trap 2
	ds_read_b64 v[4:5], v0
	s_waitcnt lgkmcnt(0)
	v_cmp_ne_u32_e32 vcc, -1, v4
	s_nop 1
	v_cndmask_b32_e64 v17, 0, 1, vcc
	v_cmp_ne_u32_e32 vcc, -1, v5
	s_nop 1
	v_addc_co_u32_e64 v6, s[0:1], 0, v17, vcc
	v_lshlrev_b32_e32 v4, 1, v6
	v_cmp_le_i32_e64 s[0:1], v4, v42
	s_and_saveexec_b64 s[2:3], s[0:1]
	s_xor_b64 s[20:21], exec, s[2:3]
	s_cbranch_execz .LBB10_1056
; %bb.9:
	flat_load_dwordx4 v[10:13], v[2:3] offset:16
	flat_load_dwordx2 v[18:19], v[2:3] offset:104
	s_trap 2
	s_load_dword s0, s[8:9], 0x0
	v_mov_b32_e32 v2, 0
	v_mov_b32_e32 v62, 4
	s_waitcnt lgkmcnt(0)
	s_cmp_lt_u32 s12, s0
	s_cselect_b32 s0, 12, 18
	s_add_u32 s0, s8, s0
	s_addc_u32 s1, s9, 0
	global_load_ushort v43, v2, s[0:1]
	ds_read_b32 v2, v0
	v_cmp_ge_i32_e64 s[0:1], v58, v17
	s_waitcnt lgkmcnt(0)
	v_readfirstlane_b32 s6, v2
	s_and_saveexec_b64 s[2:3], s[0:1]
	s_cbranch_execz .LBB10_19
; %bb.10:
	v_cmp_le_u32_e64 s[0:1], v6, v58
                                        ; implicit-def: $vgpr62
	s_and_saveexec_b64 s[4:5], s[0:1]
	s_xor_b64 s[0:1], exec, s[4:5]
	s_cbranch_execz .LBB10_16
; %bb.11:
	v_cndmask_b32_e64 v2, 0, 1, vcc
	v_sub_u32_e32 v2, v42, v2
	v_cmp_ge_u32_e32 vcc, v58, v2
                                        ; implicit-def: $sgpr7
	s_and_saveexec_b64 s[4:5], vcc
	s_xor_b64 s[4:5], exec, s[4:5]
; %bb.12:
	s_mov_b32 s7, 16
                                        ; implicit-def: $vgpr6
; %bb.13:
	s_or_saveexec_b64 s[4:5], s[4:5]
	v_mov_b32_e32 v62, s7
	s_xor_b64 exec, exec, s[4:5]
; %bb.14:
	v_sub_u32_e32 v2, v42, v6
	v_cmp_ge_i32_e32 vcc, v58, v2
	s_nop 1
	v_cndmask_b32_e64 v2, 0, 1, vcc
	v_lshlrev_b32_e32 v62, 5, v2
; %bb.15:
	s_or_b64 exec, exec, s[4:5]
.LBB10_16:
	s_andn2_saveexec_b64 s[0:1], s[0:1]
; %bb.17:
	v_mov_b32_e32 v62, 8
; %bb.18:
	s_or_b64 exec, exec, s[0:1]
.LBB10_19:
	s_or_b64 exec, exec, s[2:3]
	v_and_b32_e32 v2, 36, v62
	v_cmp_ne_u32_e32 vcc, 0, v2
	v_mov_b32_e32 v20, -1
	s_and_saveexec_b64 s[0:1], vcc
	s_cbranch_execz .LBB10_21
; %bb.20:
	s_trap 2
	ds_read_b32 v20, v0
.LBB10_21:
	s_or_b64 exec, exec, s[0:1]
	v_and_b32_e32 v2, 24, v62
	v_cmp_ne_u32_e64 s[0:1], 0, v2
	s_and_saveexec_b64 s[2:3], s[0:1]
	s_cbranch_execz .LBB10_23
; %bb.22:
	s_trap 2
	s_waitcnt lgkmcnt(0)
	ds_read_b32 v20, v0
.LBB10_23:
	s_or_b64 exec, exec, s[2:3]
	v_lshrrev_b64 v[2:3], 31, v[14:15]
	v_mov_b64_e32 v[32:33], 0
	v_and_b32_e32 v2, 3, v2
	s_waitcnt lgkmcnt(0)
	v_ashrrev_i32_e32 v21, 31, v20
	v_mov_b64_e32 v[50:51], v[32:33]
                                        ; implicit-def: $agpr6_agpr7
                                        ; implicit-def: $vgpr56
                                        ; implicit-def: $vgpr46_vgpr47
                                        ; implicit-def: $agpr18_agpr19
                                        ; implicit-def: $vgpr44_vgpr45
	s_and_saveexec_b64 s[0:1], vcc
	s_cbranch_execz .LBB10_33
; %bb.24:
	s_trap 2
	ds_read_b64 v[4:5], v0
	v_and_b32_e32 v3, 0xffff, v2
	s_movk_i32 s2, 0xa8
                                        ; implicit-def: $agpr6_agpr7
	s_waitcnt lgkmcnt(0)
	v_lshl_add_u64 v[4:5], v[20:21], 3, v[4:5]
	flat_load_dwordx2 v[4:5], v[4:5]
	s_waitcnt vmcnt(0) lgkmcnt(0)
	v_mad_u64_u32 v[4:5], s[2:3], v3, s2, v[4:5]
	flat_load_dword v3, v[4:5] offset:640
	s_mov_b64 s[2:3], 0x1f8
	v_lshl_add_u64 v[32:33], v[4:5], 0, s[2:3]
	s_waitcnt vmcnt(0) lgkmcnt(0)
	v_cmp_eq_u32_e32 vcc, 1, v3
	s_and_saveexec_b64 s[2:3], vcc
	s_cbranch_execz .LBB10_26
; %bb.25:
	flat_load_dwordx2 v[6:7], v[32:33] offset:144
	v_or_b32_e32 v62, 0x2000, v62
	s_waitcnt vmcnt(0) lgkmcnt(0)
	flat_load_dwordx2 v[4:5], v[6:7]
	s_trap 2
	v_accvgpr_write_b32 a6, v6
	v_accvgpr_write_b32 a7, v7
	s_waitcnt vmcnt(0) lgkmcnt(0)
	ds_write_b64 v0, v[4:5]
	flat_load_dwordx2 v[4:5], v[6:7] offset:8
	s_waitcnt vmcnt(0) lgkmcnt(0)
	ds_write_b64 v0, v[4:5]
	flat_load_dwordx2 v[4:5], v[6:7] offset:16
	s_waitcnt vmcnt(0) lgkmcnt(0)
	ds_write_b64 v0, v[4:5]
.LBB10_26:
	s_or_b64 exec, exec, s[2:3]
	flat_load_dwordx2 v[52:53], v[32:33] offset:104
	v_and_b32_e32 v3, 32, v62
	v_cmp_ne_u32_e32 vcc, 0, v3
                                        ; implicit-def: $vgpr44_vgpr45
	s_and_saveexec_b64 s[2:3], vcc
	s_cbranch_execz .LBB10_28
; %bb.27:
	flat_load_dwordx2 v[44:45], v[32:33] offset:56
	s_waitcnt vmcnt(0) lgkmcnt(0)
	flat_store_dwordx2 v[44:45], v[52:53] sc0 sc1
.LBB10_28:
	s_or_b64 exec, exec, s[2:3]
	v_and_b32_e32 v3, 4, v62
	v_cmp_ne_u32_e32 vcc, 0, v3
	v_mov_b64_e32 v[50:51], 0
                                        ; implicit-def: $vgpr56
                                        ; implicit-def: $vgpr46_vgpr47
                                        ; implicit-def: $agpr18_agpr19
	s_and_saveexec_b64 s[2:3], vcc
	s_cbranch_execz .LBB10_32
; %bb.29:
	v_and_b32_e32 v3, 0x800, v62
	v_cmp_eq_u32_e32 vcc, 0, v3
	s_and_saveexec_b64 s[4:5], vcc
	s_cbranch_execz .LBB10_31
; %bb.30:
	s_trap 2
	ds_write_b64 v0, v[32:33]
.LBB10_31:
	s_or_b64 exec, exec, s[4:5]
	flat_load_dwordx2 v[44:45], v[32:33] offset:48
	v_or_b32_e32 v4, 0x100, v62
	s_waitcnt vmcnt(0) lgkmcnt(0)
	flat_load_dwordx2 v[46:47], v[44:45] sc0 sc1
	flat_load_dword v3, v[32:33] offset:72
	flat_load_dwordx2 v[50:51], v[32:33] offset:96
	flat_load_dwordx2 a[18:19], v[32:33] offset:16
	s_waitcnt vmcnt(0) lgkmcnt(0)
	v_ashrrev_i32_e32 v56, 1, v3
	v_cmp_eq_u64_e32 vcc, 0, v[50:51]
	s_nop 1
	v_cndmask_b32_e32 v62, v4, v62, vcc
.LBB10_32:
	s_or_b64 exec, exec, s[2:3]
.LBB10_33:
	s_or_b64 exec, exec, s[0:1]
	v_and_b32_e32 v3, 24, v62
	v_cmp_ne_u32_e32 vcc, 0, v3
                                        ; implicit-def: $agpr24_agpr25
	s_and_saveexec_b64 s[0:1], vcc
	s_cbranch_execz .LBB10_41
; %bb.34:
	s_trap 2
	ds_read_b64 v[4:5], v0
	v_and_b32_e32 v2, 0xffff, v2
	s_movk_i32 s2, 0xa8
                                        ; implicit-def: $agpr24_agpr25
	s_waitcnt lgkmcnt(0)
	v_lshl_add_u64 v[4:5], v[20:21], 3, v[4:5]
	flat_load_dwordx2 v[4:5], v[4:5]
	s_waitcnt vmcnt(0) lgkmcnt(0)
	v_mad_u64_u32 v[32:33], s[2:3], v2, s2, v[4:5]
	flat_load_dwordx4 v[50:53], v[32:33] offset:96
	v_or_b32_e32 v2, 0x100, v62
	s_waitcnt vmcnt(0) lgkmcnt(0)
	v_cmp_eq_u64_e32 vcc, 0, v[50:51]
	s_nop 1
	v_cndmask_b32_e32 v62, v2, v62, vcc
	v_and_b32_e32 v2, 16, v62
	v_cmp_ne_u32_e32 vcc, 0, v2
	s_and_saveexec_b64 s[2:3], vcc
	s_cbranch_execz .LBB10_36
; %bb.35:
	flat_load_dwordx2 a[24:25], v[32:33] offset:120
	flat_load_dwordx2 v[44:45], v[32:33] offset:48
	flat_load_dwordx2 a[18:19], v[32:33] offset:16
.LBB10_36:
	s_or_b64 exec, exec, s[2:3]
	v_and_b32_e32 v2, 8, v62
	v_cmp_ne_u32_e32 vcc, 0, v2
	s_and_saveexec_b64 s[2:3], vcc
	s_cbranch_execz .LBB10_40
; %bb.37:
	v_and_b32_e32 v2, 0x800, v62
	v_cmp_eq_u32_e32 vcc, 0, v2
	s_and_saveexec_b64 s[4:5], vcc
	s_cbranch_execz .LBB10_39
; %bb.38:
	s_trap 2
	ds_write_b64 v0, v[32:33]
.LBB10_39:
	s_or_b64 exec, exec, s[4:5]
	s_waitcnt vmcnt(0) lgkmcnt(0)
	flat_load_dwordx2 v[44:45], v[32:33] offset:56
	s_waitcnt vmcnt(0) lgkmcnt(0)
	flat_load_dwordx2 v[46:47], v[44:45] sc0 sc1
	flat_load_dword v2, v[32:33] offset:72
	flat_load_dwordx2 a[18:19], v[32:33] offset:16
	s_waitcnt vmcnt(0) lgkmcnt(0)
	v_ashrrev_i32_e32 v56, 1, v2
.LBB10_40:
	s_or_b64 exec, exec, s[2:3]
.LBB10_41:
	s_or_b64 exec, exec, s[0:1]
	v_cmp_eq_u32_e64 s[0:1], 0, v58
	s_and_saveexec_b64 s[2:3], s[0:1]
	s_cbranch_execz .LBB10_43
; %bb.42:
	s_waitcnt vmcnt(0)
	v_mov_b32_e32 v2, v12
	v_mov_b32_e32 v3, v13
	;; [unrolled: 1-line block ×4, first 2 shown]
	ds_write2_b64 v0, v[2:3], v[4:5] offset1:1
	v_mov_b32_e32 v2, 0
	v_mov_b32_e32 v3, v2
	s_trap 2
	ds_write_b64 v0, v[2:3]
	ds_write_b64 v0, v[18:19]
.LBB10_43:
	s_or_b64 exec, exec, s[2:3]
	s_ashr_i32 s2, s6, 31
	s_lshr_b32 s2, s2, 29
	s_add_i32 s6, s6, s2
	v_bfe_u32 v2, v14, 1, 30
	v_and_b32_e32 v34, 0x1fffff00, v16
	v_mov_b32_e32 v35, 0
	s_ashr_i32 s60, s6, 4
	v_cmp_ne_u32_e32 vcc, v1, v2
                                        ; implicit-def: $agpr20_agpr21
	s_and_saveexec_b64 s[2:3], vcc
	s_xor_b64 s[22:23], exec, s[2:3]
	s_cbranch_execz .LBB10_847
; %bb.44:
	v_cmp_ne_u32_e32 vcc, v0, v2
	v_cmp_ne_u64_e64 s[2:3], 0, v[54:55]
                                        ; implicit-def: $agpr20_agpr21
	s_and_saveexec_b64 s[4:5], vcc
	s_xor_b64 s[24:25], exec, s[4:5]
	s_cbranch_execz .LBB10_449
; %bb.45:
	v_mov_b64_e32 v[0:1], 0
	v_accvgpr_write_b32 a21, v1
	v_accvgpr_write_b32 a20, v0
	s_and_saveexec_b64 s[26:27], s[2:3]
	s_cbranch_execz .LBB10_448
; %bb.46:
	v_and_b32_e32 v0, 63, v31
	v_cmp_eq_u32_e64 s[10:11], 0, v0
	v_ashrrev_i32_e32 v0, 31, v58
	v_lshrrev_b32_e32 v0, 26, v0
	v_add_u32_e32 v0, v58, v0
	v_and_b32_e32 v1, 0xffffffc0, v0
	v_ashrrev_i32_e32 v61, 6, v0
	v_sub_u32_e32 v1, v58, v1
	v_lshlrev_b32_e32 v0, 12, v61
	v_lshl_add_u32 v0, v1, 4, v0
	v_cmp_le_i32_e64 s[12:13], v1, v17
	v_cmp_lt_i32_e64 s[14:15], v1, v17
	v_accvgpr_write_b32 a15, v1
	v_ashrrev_i32_e32 v1, 31, v0
	v_accvgpr_write_b32 a29, v1
	v_lshrrev_b32_e32 v4, 6, v42
	v_accvgpr_write_b32 a28, v0
	v_mov_b32_e32 v0, 0xfffff000
	v_lshl_add_u32 v0, v4, 12, v0
	v_ashrrev_i32_e32 v1, 31, v0
	s_mov_b64 s[16:17], 0x1000
	v_lshl_add_u64 v[0:1], v[0:1], 0, s[16:17]
	v_accvgpr_write_b32 a31, v1
	v_lshlrev_b32_e32 v36, 10, v4
	v_accvgpr_write_b32 a30, v0
	v_add_u32_e32 v0, 0xfffffc00, v36
	v_ashrrev_i32_e32 v1, 31, v0
	s_mov_b64 s[16:17], 0x400
	v_lshl_add_u64 v[0:1], v[0:1], 0, s[16:17]
	v_accvgpr_write_b32 a33, v1
	v_accvgpr_write_b32 a32, v0
	v_mov_b32_e32 v0, 0xfffff800
	v_lshl_add_u32 v0, v4, 11, v0
	s_waitcnt vmcnt(0) lgkmcnt(0)
	v_accvgpr_write_b32 a8, v50
	v_ashrrev_i32_e32 v1, 31, v0
	s_mov_b64 s[16:17], 0x800
	v_lshlrev_b32_e32 v37, 7, v4
	v_accvgpr_write_b32 a9, v51
	v_accvgpr_write_b32 a10, v52
	;; [unrolled: 1-line block ×3, first 2 shown]
	v_lshl_add_u64 v[52:53], v[0:1], 0, s[16:17]
	v_add_u32_e32 v0, 0xffffff80, v37
	v_ashrrev_i32_e32 v1, 31, v0
	s_mov_b64 s[16:17], 0x80
	v_lshl_add_u64 v[0:1], v[0:1], 0, s[16:17]
	v_mov_b64_e32 v[2:3], v[54:55]
	v_mov_b32_e32 v55, 0
	v_accvgpr_write_b32 a37, v1
	s_lshr_b32 s4, s60, 27
	v_accvgpr_write_b32 a14, v56
	v_ashrrev_i32_e32 v59, 31, v56
	v_mov_b32_e32 v5, v55
	v_accvgpr_write_b32 a36, v0
	v_accvgpr_read_b32 v0, a24
	v_mov_b64_e32 v[56:57], 0
	s_add_i32 s4, s60, s4
	v_cmp_eq_u32_e32 vcc, 64, v42
	v_accvgpr_write_b32 a23, v5
	v_accvgpr_read_b32 v1, a25
	v_accvgpr_write_b32 a20, v56
	v_accvgpr_write_b32 a2, v40
	;; [unrolled: 1-line block ×4, first 2 shown]
	s_ashr_i32 s61, s4, 5
	v_cmp_ge_i32_e64 s[4:5], v58, v42
	v_cmp_ne_u32_e64 s[6:7], 64, v42
	v_cmp_ne_u32_sdwa s[28:29], v43, v42 src0_sel:WORD_0 src1_sel:DWORD
	s_movk_i32 s62, 0xfc00
	v_accvgpr_write_b32 a22, v4
	s_mov_b64 s[30:31], 0
	v_cmp_eq_u64_e64 s[16:17], 0, v[0:1]
	s_movk_i32 s63, 0x270e
	s_movk_i32 s64, 0x108
	s_xor_b64 s[34:35], vcc, -1
	s_mov_b32 s65, 0x7f800000
	s_movk_i32 s66, 0x7fff
	s_mov_b32 s67, 0xffff0000
	s_mov_b64 s[36:37], 0x780
	v_accvgpr_write_b32 a21, v57
	v_accvgpr_write_b32 a3, v41
	;; [unrolled: 1-line block ×6, first 2 shown]
	s_trap 2
	s_branch .LBB10_49
.LBB10_47:                              ;   in Loop: Header=BB10_49 Depth=1
	s_or_b64 exec, exec, s[18:19]
.LBB10_48:                              ;   in Loop: Header=BB10_49 Depth=1
	s_or_b64 exec, exec, s[40:41]
	v_accvgpr_read_b32 v3, a1
	v_lshl_add_u64 v[56:57], v[56:57], 0, v[34:35]
	v_accvgpr_read_b32 v2, a0
	v_cmp_ge_u64_e32 vcc, v[56:57], v[2:3]
	s_or_b64 s[30:31], vcc, s[30:31]
	s_andn2_b64 exec, exec, s[30:31]
	s_cbranch_execz .LBB10_447
.LBB10_49:                              ; =>This Loop Header: Depth=1
                                        ;     Child Loop BB10_58 Depth 2
                                        ;     Child Loop BB10_84 Depth 2
	;; [unrolled: 1-line block ×10, first 2 shown]
	v_sub_co_u32_e32 v0, vcc, v2, v56
	v_accvgpr_write_b32 a0, v2
	s_nop 0
	v_subb_co_u32_e32 v1, vcc, v3, v57, vcc
	v_cmp_lt_u64_e32 vcc, v[34:35], v[0:1]
	v_accvgpr_write_b32 a1, v3
	s_nop 0
	v_cndmask_b32_e64 v3, v1, 0, vcc
	v_cndmask_b32_e32 v2, v0, v34, vcc
	v_add_u32_e32 v0, 15, v2
	v_cmp_eq_u64_e32 vcc, 0, v[2:3]
	v_and_b32_e32 v0, 0x3ffffff0, v0
	s_or_b64 s[38:39], s[4:5], vcc
	v_max_i32_e32 v38, s61, v0
	v_accvgpr_write_b32 a38, v2
	s_xor_b64 s[18:19], s[38:39], -1
	v_mov_b32_e32 v2, 0
	s_and_saveexec_b64 s[40:41], s[18:19]
	s_cbranch_execz .LBB10_397
; %bb.50:                               ;   in Loop: Header=BB10_49 Depth=1
	s_and_saveexec_b64 s[18:19], s[0:1]
	s_cbranch_execz .LBB10_52
; %bb.51:                               ;   in Loop: Header=BB10_49 Depth=1
	s_trap 2
	ds_read_b64 v[0:1], v0
	v_mov_b32_e32 v54, v55
	s_waitcnt lgkmcnt(0)
	v_lshl_add_u64 v[0:1], v[40:41], 1, v[0:1]
	v_lshl_add_u64 v[0:1], v[56:57], 1, v[0:1]
	ds_write_b64 v0, v[0:1]
	ds_write_b64 v0, v[54:55]
.LBB10_52:                              ;   in Loop: Header=BB10_49 Depth=1
	s_or_b64 exec, exec, s[18:19]
	v_and_b32_e32 v0, 12, v62
	v_cmp_ne_u32_e32 vcc, 0, v0
	v_accvgpr_read_b32 v0, a8
	v_accvgpr_read_b32 v1, a9
	;; [unrolled: 1-line block ×4, first 2 shown]
	s_mov_b64 s[42:43], -1
	v_lshl_add_u64 v[0:1], v[2:3], 0, 1
	s_and_saveexec_b64 s[18:19], vcc
	s_cbranch_execz .LBB10_64
; %bb.53:                               ;   in Loop: Header=BB10_49 Depth=1
	v_accvgpr_read_b32 v4, a8
	v_and_b32_e32 v54, 8, v62
	v_accvgpr_read_b32 v6, a10
	v_accvgpr_read_b32 v7, a11
	v_lshl_add_u64 v[2:3], v[46:47], 0, v[54:55]
	v_lshl_add_u64 v[10:11], v[6:7], 0, 1
	v_cmp_lt_u64_e32 vcc, v[2:3], v[10:11]
	v_mov_b32_e32 v2, 1
	v_accvgpr_read_b32 v5, a9
	s_and_saveexec_b64 s[42:43], vcc
	s_cbranch_execz .LBB10_63
; %bb.54:                               ;   in Loop: Header=BB10_49 Depth=1
	s_mov_b64 s[44:45], 0
	v_mov_b32_e32 v2, 0
                                        ; implicit-def: $sgpr46_sgpr47
	s_branch .LBB10_58
.LBB10_55:                              ;   in Loop: Header=BB10_58 Depth=2
	s_or_b64 exec, exec, s[54:55]
	v_mov_b32_e32 v3, 0
	s_orn2_b64 s[52:53], s[52:53], exec
.LBB10_56:                              ;   in Loop: Header=BB10_58 Depth=2
	s_or_b64 exec, exec, s[50:51]
	s_andn2_b64 vcc, s[46:47], exec
	s_and_b64 s[46:47], s[52:53], exec
	s_or_b64 s[46:47], vcc, s[46:47]
	v_mov_b32_e32 v2, v3
.LBB10_57:                              ;   in Loop: Header=BB10_58 Depth=2
	s_or_b64 exec, exec, s[48:49]
	s_waitcnt vmcnt(0) lgkmcnt(0)
	v_lshl_add_u64 v[4:5], v[46:47], 0, v[54:55]
	v_cmp_ge_u64_e32 vcc, v[4:5], v[10:11]
	s_xor_b64 s[48:49], s[46:47], -1
	s_or_b64 vcc, s[48:49], vcc
	s_and_b64 vcc, exec, vcc
	s_or_b64 s[44:45], vcc, s[44:45]
	s_andn2_b64 exec, exec, s[44:45]
	s_cbranch_execz .LBB10_62
.LBB10_58:                              ;   Parent Loop BB10_49 Depth=1
                                        ; =>  This Inner Loop Header: Depth=2
	s_sleep 1
	flat_load_dwordx2 v[46:47], v[44:45] sc0 sc1
	v_and_b32_e32 v3, 64, v62
	v_cmp_eq_u32_e32 vcc, 0, v3
	s_andn2_b64 s[46:47], s[46:47], exec
	s_and_saveexec_b64 s[48:49], vcc
	s_cbranch_execz .LBB10_57
; %bb.59:                               ;   in Loop: Header=BB10_58 Depth=2
	v_add_u32_e32 v3, 1, v2
	v_cmp_lt_i32_e32 vcc, s63, v2
	s_mov_b64 s[52:53], -1
	s_and_saveexec_b64 s[50:51], vcc
	s_cbranch_execz .LBB10_56
; %bb.60:                               ;   in Loop: Header=BB10_58 Depth=2
	s_trap 2
	ds_read_b64 v[2:3], v0
	s_waitcnt vmcnt(0) lgkmcnt(0)
	flat_load_dword v2, v[2:3] sc0 sc1
	s_waitcnt vmcnt(0) lgkmcnt(0)
	buffer_inv sc0 sc1
	v_cmp_ne_u32_e32 vcc, 0, v2
	s_and_saveexec_b64 s[54:55], vcc
	s_cbranch_execz .LBB10_55
; %bb.61:                               ;   in Loop: Header=BB10_58 Depth=2
	v_or_b32_e32 v62, 64, v62
	s_xor_b64 s[52:53], exec, -1
	ds_write_b32 v0, v2
	s_trap 2
	s_branch .LBB10_55
.LBB10_62:                              ;   in Loop: Header=BB10_49 Depth=1
	s_or_b64 exec, exec, s[44:45]
	v_and_b32_e32 v2, 12, v62
.LBB10_63:                              ;   in Loop: Header=BB10_49 Depth=1
	s_or_b64 exec, exec, s[42:43]
	v_cmp_eq_u32_e32 vcc, 0, v2
	s_orn2_b64 s[42:43], vcc, exec
	;;#ASMSTART
	s_wakeup
	;;#ASMEND
.LBB10_64:                              ;   in Loop: Header=BB10_49 Depth=1
	s_or_b64 exec, exec, s[18:19]
	v_accvgpr_read_b32 v2, a38
	s_xor_b64 s[18:19], s[42:43], -1
	v_min_u32_e32 v38, v38, v2
	s_and_saveexec_b64 s[42:43], s[18:19]
	s_cbranch_execz .LBB10_76
; %bb.65:                               ;   in Loop: Header=BB10_49 Depth=1
	v_and_b32_e32 v2, 0x108, v62
	v_cmp_ne_u32_e32 vcc, s64, v2
	v_accvgpr_read_b32 v2, a8
	v_accvgpr_read_b32 v4, a10
	v_and_b32_e32 v8, 7, v4
	v_accvgpr_read_b32 v3, a9
	s_and_saveexec_b64 s[18:19], vcc
	s_xor_b64 s[18:19], exec, s[18:19]
	s_andn2_saveexec_b64 s[18:19], s[18:19]
	s_cbranch_execz .LBB10_67
; %bb.66:                               ;   in Loop: Header=BB10_49 Depth=1
	v_accvgpr_read_b32 v2, a8
	v_accvgpr_read_b32 v3, a9
	v_mad_u64_u32 v[2:3], vcc, v8, 24, v[2:3]
	v_lshlrev_b32_e32 v4, 1, v38
	v_mov_b32_e32 v5, v55
	flat_store_dwordx2 v[2:3], v[4:5] offset:8
.LBB10_67:                              ;   in Loop: Header=BB10_49 Depth=1
	s_or_b64 exec, exec, s[18:19]
	v_and_b32_e32 v2, 0x100, v62
	v_cmp_ne_u32_e32 vcc, 0, v2
	s_mov_b64 s[18:19], -1
                                        ; implicit-def: $vgpr10_vgpr11
	s_and_saveexec_b64 s[44:45], vcc
	s_cbranch_execz .LBB10_71
; %bb.68:                               ;   in Loop: Header=BB10_49 Depth=1
	v_accvgpr_read_b32 v2, a8
	v_accvgpr_read_b32 v3, a9
	v_mad_u64_u32 v[2:3], s[18:19], v8, 24, v[2:3]
	v_mov_b32_e32 v4, v3
	v_mad_u64_u32 v[4:5], s[18:19], v55, 24, v[4:5]
	v_mov_b32_e32 v3, v4
	flat_load_dword v4, v[2:3]
                                        ; implicit-def: $vgpr10_vgpr11
	s_waitcnt vmcnt(0) lgkmcnt(0)
	v_cmp_ne_u32_e32 vcc, 1, v4
	v_cmp_eq_u32_e64 s[18:19], 1, v4
	s_and_saveexec_b64 s[46:47], s[18:19]
	s_cbranch_execz .LBB10_70
; %bb.69:                               ;   in Loop: Header=BB10_49 Depth=1
	flat_load_dword v2, v[2:3] offset:4 sc0 sc1
	s_waitcnt vmcnt(0) lgkmcnt(0)
	v_ashrrev_i32_e32 v3, 31, v2
	v_lshrrev_b64 v[10:11], 1, v[2:3]
.LBB10_70:                              ;   in Loop: Header=BB10_49 Depth=1
	s_or_b64 exec, exec, s[46:47]
	s_orn2_b64 s[18:19], vcc, exec
.LBB10_71:                              ;   in Loop: Header=BB10_49 Depth=1
	s_or_b64 exec, exec, s[44:45]
	s_and_saveexec_b64 vcc, s[18:19]
; %bb.72:                               ;   in Loop: Header=BB10_49 Depth=1
	v_accvgpr_read_b32 v4, a14
	v_mul_lo_u32 v2, v55, v4
	v_mul_lo_u32 v3, v8, v59
	v_mad_u64_u32 v[10:11], s[18:19], v8, v4, 0
	v_add3_u32 v11, v11, v3, v2
; %bb.73:                               ;   in Loop: Header=BB10_49 Depth=1
	s_or_b64 exec, exec, vcc
	v_accvgpr_read_b32 v2, a18
	v_accvgpr_read_b32 v3, a19
	v_lshl_add_u64 v[2:3], v[10:11], 1, v[2:3]
	s_trap 2
	ds_write_b64 v0, v[2:3]
	v_and_b32_e32 v2, 0x2000, v62
	v_cmp_ne_u32_e32 vcc, 0, v2
	s_and_saveexec_b64 s[18:19], vcc
	s_cbranch_execz .LBB10_75
; %bb.74:                               ;   in Loop: Header=BB10_49 Depth=1
	ds_read_b64 v[2:3], v0 offset:584
	s_waitcnt lgkmcnt(0)
	v_lshl_add_u64 v[2:3], v[2:3], 0, 1
	ds_write_b64 v0, v[2:3] offset:584
.LBB10_75:                              ;   in Loop: Header=BB10_49 Depth=1
	s_or_b64 exec, exec, s[18:19]
	v_accvgpr_write_b32 a11, v1
	v_accvgpr_write_b32 a10, v0
.LBB10_76:                              ;   in Loop: Header=BB10_49 Depth=1
	s_or_b64 exec, exec, s[42:43]
	s_and_saveexec_b64 s[18:19], s[6:7]
	s_cbranch_execz .LBB10_95
; %bb.77:                               ;   in Loop: Header=BB10_49 Depth=1
	s_and_saveexec_b64 vcc, s[28:29]
	s_xor_b64 s[42:43], exec, vcc
	s_cbranch_execz .LBB10_92
; %bb.78:                               ;   in Loop: Header=BB10_49 Depth=1
	s_and_saveexec_b64 s[44:45], s[10:11]
	s_cbranch_execz .LBB10_91
; %bb.79:                               ;   in Loop: Header=BB10_49 Depth=1
	s_mov_b64 s[48:49], exec
	v_mbcnt_lo_u32_b32 v0, s48, 0
	v_mbcnt_hi_u32_b32 v0, s49, v0
	v_cmp_eq_u32_e32 vcc, 0, v0
	s_waitcnt lgkmcnt(0)
	s_and_saveexec_b64 s[46:47], vcc
	s_cbranch_execz .LBB10_81
; %bb.80:                               ;   in Loop: Header=BB10_49 Depth=1
	s_bcnt1_i32_b64 vcc_lo, s[48:49]
	v_mov_b32_e32 v54, vcc_lo
	ds_add_u64 v0, v[54:55]
	s_trap 2
.LBB10_81:                              ;   in Loop: Header=BB10_49 Depth=1
	s_or_b64 exec, exec, s[46:47]
	s_trap 2
	ds_read_b64 v[0:1], v0
	v_accvgpr_read_b32 v2, a20
	v_accvgpr_read_b32 v4, a22
	v_accvgpr_read_b32 v3, a21
	v_accvgpr_read_b32 v5, a23
	v_lshl_add_u64 v[2:3], v[2:3], 0, v[4:5]
	v_accvgpr_write_b32 a21, v3
	v_accvgpr_write_b32 a20, v2
	s_waitcnt lgkmcnt(0)
	v_cmp_lt_u64_e32 vcc, v[0:1], v[2:3]
	s_and_saveexec_b64 s[46:47], vcc
	s_cbranch_execz .LBB10_90
; %bb.82:                               ;   in Loop: Header=BB10_49 Depth=1
	s_mov_b32 s58, 0
	s_mov_b64 s[48:49], 0
                                        ; implicit-def: $sgpr50_sgpr51
                                        ; implicit-def: $sgpr52_sgpr53
	s_branch .LBB10_84
.LBB10_83:                              ;   in Loop: Header=BB10_84 Depth=2
	s_or_b64 exec, exec, s[56:57]
	s_and_b64 vcc, exec, vcc
	s_or_b64 s[48:49], vcc, s[48:49]
	s_andn2_b64 vcc, s[50:51], exec
	s_and_b64 s[50:51], s[52:53], exec
	s_or_b64 s[50:51], vcc, s[50:51]
	s_andn2_b64 exec, exec, s[48:49]
	s_cbranch_execz .LBB10_88
.LBB10_84:                              ;   Parent Loop BB10_49 Depth=1
                                        ; =>  This Inner Loop Header: Depth=2
	s_add_i32 s58, s58, 1
	s_cmpk_lg_i32 s58, 0x2710
	s_cselect_b64 s[54:55], -1, 0
	s_and_b64 vcc, exec, s[54:55]
                                        ; implicit-def: $sgpr56_sgpr57
	s_cbranch_vccnz .LBB10_86
; %bb.85:                               ;   in Loop: Header=BB10_84 Depth=2
	s_trap 2
	ds_read_b64 v[0:1], v0
	s_andn2_b64 s[54:55], s[54:55], exec
	s_mov_b32 s58, 0
	s_mov_b64 s[56:57], -1
	s_waitcnt vmcnt(0) lgkmcnt(0)
	flat_load_dword v0, v[0:1] sc0 sc1
	s_waitcnt vmcnt(0) lgkmcnt(0)
	buffer_inv sc0 sc1
	v_cmp_eq_u32_e32 vcc, 0, v0
	s_and_b64 vcc, vcc, exec
	s_or_b64 s[54:55], s[54:55], vcc
.LBB10_86:                              ;   in Loop: Header=BB10_84 Depth=2
	s_andn2_b64 s[52:53], s[52:53], exec
	s_and_b64 s[56:57], s[56:57], exec
	s_mov_b64 vcc, -1
	s_or_b64 s[52:53], s[52:53], s[56:57]
	s_and_saveexec_b64 s[56:57], s[54:55]
	s_cbranch_execz .LBB10_83
; %bb.87:                               ;   in Loop: Header=BB10_84 Depth=2
	s_sleep 1
	s_trap 2
	ds_read_b64 v[0:1], v0
	v_accvgpr_read_b32 v2, a20
	v_accvgpr_read_b32 v3, a21
	s_andn2_b64 s[52:53], s[52:53], exec
	s_waitcnt lgkmcnt(0)
	v_cmp_ge_u64_e32 vcc, v[0:1], v[2:3]
	s_orn2_b64 vcc, vcc, exec
	s_branch .LBB10_83
.LBB10_88:                              ;   in Loop: Header=BB10_49 Depth=1
	s_or_b64 exec, exec, s[48:49]
	s_and_saveexec_b64 vcc, s[50:51]
	s_xor_b64 vcc, exec, vcc
	s_cbranch_execz .LBB10_90
; %bb.89:                               ;   in Loop: Header=BB10_49 Depth=1
	v_mov_b32_e32 v0, 1
	ds_write_b32 v0, v0
	s_trap 2
.LBB10_90:                              ;   in Loop: Header=BB10_49 Depth=1
	s_or_b64 exec, exec, s[46:47]
	;;#ASMSTART
	s_wakeup
	;;#ASMEND
.LBB10_91:                              ;   in Loop: Header=BB10_49 Depth=1
	s_or_b64 exec, exec, s[44:45]
.LBB10_92:                              ;   in Loop: Header=BB10_49 Depth=1
	s_andn2_saveexec_b64 vcc, s[42:43]
	s_cbranch_execz .LBB10_94
; %bb.93:                               ;   in Loop: Header=BB10_49 Depth=1
	s_waitcnt lgkmcnt(0)
	s_barrier
.LBB10_94:                              ;   in Loop: Header=BB10_49 Depth=1
	s_or_b64 exec, exec, vcc
.LBB10_95:                              ;   in Loop: Header=BB10_49 Depth=1
	s_or_b64 exec, exec, s[18:19]
	s_trap 2
	ds_read_b32 v0, v0
	v_and_b32_e32 v1, 0x4000, v62
	v_cmp_ne_u32_e32 vcc, 0, v1
	s_and_b64 vcc, s[34:35], vcc
	s_and_saveexec_b64 s[18:19], vcc
	s_cbranch_execz .LBB10_114
; %bb.96:                               ;   in Loop: Header=BB10_49 Depth=1
	s_and_saveexec_b64 vcc, s[28:29]
	s_xor_b64 s[42:43], exec, vcc
	s_cbranch_execz .LBB10_111
; %bb.97:                               ;   in Loop: Header=BB10_49 Depth=1
	s_and_saveexec_b64 s[44:45], s[10:11]
	s_cbranch_execz .LBB10_110
; %bb.98:                               ;   in Loop: Header=BB10_49 Depth=1
	s_mov_b64 s[48:49], exec
	v_mbcnt_lo_u32_b32 v1, s48, 0
	v_mbcnt_hi_u32_b32 v1, s49, v1
	v_cmp_eq_u32_e32 vcc, 0, v1
	s_waitcnt lgkmcnt(0)
	s_and_saveexec_b64 s[46:47], vcc
	s_cbranch_execz .LBB10_100
; %bb.99:                               ;   in Loop: Header=BB10_49 Depth=1
	s_bcnt1_i32_b64 vcc_lo, s[48:49]
	v_mov_b32_e32 v54, vcc_lo
	ds_add_u64 v0, v[54:55]
	s_trap 2
.LBB10_100:                             ;   in Loop: Header=BB10_49 Depth=1
	s_or_b64 exec, exec, s[46:47]
	s_trap 2
	ds_read_b64 v[2:3], v0
	v_accvgpr_read_b32 v4, a20
	v_accvgpr_read_b32 v6, a22
	;; [unrolled: 1-line block ×4, first 2 shown]
	v_lshl_add_u64 v[4:5], v[4:5], 0, v[6:7]
	v_accvgpr_write_b32 a21, v5
	v_accvgpr_write_b32 a20, v4
	s_waitcnt lgkmcnt(0)
	v_cmp_lt_u64_e32 vcc, v[2:3], v[4:5]
	s_and_saveexec_b64 s[46:47], vcc
	s_cbranch_execz .LBB10_109
; %bb.101:                              ;   in Loop: Header=BB10_49 Depth=1
	s_mov_b32 s58, 0
	s_mov_b64 s[48:49], 0
                                        ; implicit-def: $sgpr50_sgpr51
                                        ; implicit-def: $sgpr52_sgpr53
	s_branch .LBB10_103
.LBB10_102:                             ;   in Loop: Header=BB10_103 Depth=2
	s_or_b64 exec, exec, s[56:57]
	s_and_b64 vcc, exec, vcc
	s_or_b64 s[48:49], vcc, s[48:49]
	s_andn2_b64 vcc, s[50:51], exec
	s_and_b64 s[50:51], s[52:53], exec
	s_or_b64 s[50:51], vcc, s[50:51]
	s_andn2_b64 exec, exec, s[48:49]
	s_cbranch_execz .LBB10_107
.LBB10_103:                             ;   Parent Loop BB10_49 Depth=1
                                        ; =>  This Inner Loop Header: Depth=2
	s_add_i32 s58, s58, 1
	s_cmpk_lg_i32 s58, 0x2710
	s_cselect_b64 s[54:55], -1, 0
	s_and_b64 vcc, exec, s[54:55]
                                        ; implicit-def: $sgpr56_sgpr57
	s_cbranch_vccnz .LBB10_105
; %bb.104:                              ;   in Loop: Header=BB10_103 Depth=2
	s_trap 2
	ds_read_b64 v[2:3], v0
	s_andn2_b64 s[54:55], s[54:55], exec
	s_mov_b32 s58, 0
	s_mov_b64 s[56:57], -1
	s_waitcnt vmcnt(0) lgkmcnt(0)
	flat_load_dword v1, v[2:3] sc0 sc1
	s_waitcnt vmcnt(0) lgkmcnt(0)
	buffer_inv sc0 sc1
	v_cmp_eq_u32_e32 vcc, 0, v1
	s_and_b64 vcc, vcc, exec
	s_or_b64 s[54:55], s[54:55], vcc
.LBB10_105:                             ;   in Loop: Header=BB10_103 Depth=2
	s_andn2_b64 s[52:53], s[52:53], exec
	s_and_b64 s[56:57], s[56:57], exec
	s_mov_b64 vcc, -1
	s_or_b64 s[52:53], s[52:53], s[56:57]
	s_and_saveexec_b64 s[56:57], s[54:55]
	s_cbranch_execz .LBB10_102
; %bb.106:                              ;   in Loop: Header=BB10_103 Depth=2
	s_sleep 1
	s_trap 2
	ds_read_b64 v[2:3], v0
	v_accvgpr_read_b32 v4, a20
	v_accvgpr_read_b32 v5, a21
	s_andn2_b64 s[52:53], s[52:53], exec
	s_waitcnt lgkmcnt(0)
	v_cmp_ge_u64_e32 vcc, v[2:3], v[4:5]
	s_orn2_b64 vcc, vcc, exec
	s_branch .LBB10_102
.LBB10_107:                             ;   in Loop: Header=BB10_49 Depth=1
	s_or_b64 exec, exec, s[48:49]
	s_and_saveexec_b64 vcc, s[50:51]
	s_xor_b64 vcc, exec, vcc
	s_cbranch_execz .LBB10_109
; %bb.108:                              ;   in Loop: Header=BB10_49 Depth=1
	v_mov_b32_e32 v1, 1
	ds_write_b32 v0, v1
	s_trap 2
.LBB10_109:                             ;   in Loop: Header=BB10_49 Depth=1
	s_or_b64 exec, exec, s[46:47]
	;;#ASMSTART
	s_wakeup
	;;#ASMEND
.LBB10_110:                             ;   in Loop: Header=BB10_49 Depth=1
	s_or_b64 exec, exec, s[44:45]
.LBB10_111:                             ;   in Loop: Header=BB10_49 Depth=1
	s_andn2_saveexec_b64 vcc, s[42:43]
	s_cbranch_execz .LBB10_113
; %bb.112:                              ;   in Loop: Header=BB10_49 Depth=1
	s_waitcnt lgkmcnt(0)
	s_barrier
.LBB10_113:                             ;   in Loop: Header=BB10_49 Depth=1
	s_or_b64 exec, exec, vcc
.LBB10_114:                             ;   in Loop: Header=BB10_49 Depth=1
	s_or_b64 exec, exec, s[18:19]
	s_trap 2
	s_waitcnt lgkmcnt(0)
	ds_read_b64 v[2:3], v0
	s_waitcnt lgkmcnt(0)
	v_readfirstlane_b32 s18, v2
	v_readfirstlane_b32 s19, v3
	s_cmp_eq_u64 s[18:19], 0
	s_cselect_b64 s[18:19], -1, 0
	s_or_b64 vcc, s[18:19], s[18:19]
	s_mov_b64 s[18:19], 0
	s_and_b64 vcc, exec, vcc
	s_cbranch_vccnz .LBB10_371
; %bb.115:                              ;   in Loop: Header=BB10_49 Depth=1
	s_mov_b64 s[18:19], -1
	s_and_saveexec_b64 s[42:43], s[12:13]
	s_cbranch_execz .LBB10_117
; %bb.116:                              ;   in Loop: Header=BB10_49 Depth=1
	ds_read_b32 v1, v0 offset:720
	s_waitcnt lgkmcnt(0)
	v_and_b32_e32 v1, 15, v1
	v_cmp_eq_u32_e32 vcc, 0, v1
	s_orn2_b64 s[18:19], vcc, exec
.LBB10_117:                             ;   in Loop: Header=BB10_49 Depth=1
	s_or_b64 exec, exec, s[42:43]
	s_and_saveexec_b64 s[42:43], s[14:15]
	s_cbranch_execz .LBB10_119
; %bb.118:                              ;   in Loop: Header=BB10_49 Depth=1
	ds_read_b32 v1, v0 offset:784
	s_waitcnt lgkmcnt(0)
	v_and_b32_e32 v1, 15, v1
	v_cmp_eq_u32_e32 vcc, 0, v1
	s_and_b64 vcc, s[18:19], vcc
	s_andn2_b64 s[18:19], s[18:19], exec
	s_and_b64 vcc, vcc, exec
	s_or_b64 s[18:19], s[18:19], vcc
.LBB10_119:                             ;   in Loop: Header=BB10_49 Depth=1
	s_or_b64 exec, exec, s[42:43]
	v_cmp_eq_u32_e32 vcc, 0, v0
	s_xor_b64 s[18:19], s[18:19], -1
	v_cndmask_b32_e64 v0, 0, 1, s[18:19]
	v_cndmask_b32_e32 v39, 0, v38, vcc
	v_mov_b32_e32 v14, 0
	v_lshlrev_b32_e32 v48, 1, v39
	s_mov_b64 s[44:45], -1
	;;#ASMSTART
	;;#ASMEND
	s_nop 0
	v_cmp_ne_u32_e32 vcc, 0, v0
	s_cbranch_vccz .LBB10_121
; %bb.120:                              ;   in Loop: Header=BB10_49 Depth=1
	v_mov_b32_e32 v15, v58
	v_mov_b32_e32 v0, v61
	s_and_saveexec_b64 s[18:19], s[44:45]
	s_cbranch_execnz .LBB10_294
	s_branch .LBB10_370
.LBB10_121:                             ;   in Loop: Header=BB10_49 Depth=1
	v_lshrrev_b32_e32 v0, 11, v39
	v_sub_u32_e32 v54, v0, v61
	v_cmp_lt_i32_e32 vcc, 0, v54
	s_and_saveexec_b64 s[18:19], vcc
	s_cbranch_execz .LBB10_253
; %bb.122:                              ;   in Loop: Header=BB10_49 Depth=1
	v_accvgpr_write_b32 a41, v0
	s_trap 2
	ds_read_b128 v[0:3], v0
	v_accvgpr_read_b32 v6, a28
	v_accvgpr_write_b32 a4, v32
	v_accvgpr_read_b32 v7, a29
	v_accvgpr_write_b32 a40, v48
	s_waitcnt lgkmcnt(0)
	ds_read_b64 v[4:5], v0
	v_accvgpr_write_b32 a39, v39
	v_accvgpr_write_b32 a35, v38
	;; [unrolled: 1-line block ×4, first 2 shown]
	v_lshl_add_u64 v[0:1], v[0:1], 0, v[6:7]
	v_lshl_add_u64 v[44:45], v[2:3], 0, v[6:7]
	s_waitcnt lgkmcnt(0)
	v_lshl_add_u64 v[60:61], v[4:5], 0, v[6:7]
	s_mov_b64 s[42:43], 0
	s_branch .LBB10_124
.LBB10_123:                             ;   in Loop: Header=BB10_124 Depth=2
	s_or_b64 exec, exec, s[44:45]
	v_lshrrev_b32_e32 v2, 16, v29
	v_lshrrev_b32_e32 v11, 16, v48
	v_and_or_b32 v3, v23, s67, v2
	v_lshrrev_b32_e32 v2, 16, v27
	v_lshrrev_b32_e32 v9, 16, v34
	v_and_or_b32 v27, v49, s67, v11
	;; [unrolled: 3-line block ×3, first 2 shown]
	v_and_or_b32 v26, v41, s67, v11
	v_lshrrev_b32_e32 v11, 16, v40
	v_and_or_b32 v8, v28, s67, v8
	v_and_or_b32 v28, v38, s67, v11
	v_lshrrev_b32_e32 v11, 16, v50
	v_and_or_b32 v29, v36, s67, v11
	v_lshrrev_b32_e32 v11, 16, v21
	v_lshrrev_b32_e32 v4, 16, v35
	v_and_or_b32 v21, v15, s67, v11
	v_lshrrev_b32_e32 v11, 16, v19
	v_and_or_b32 v4, v20, s67, v4
	;; [unrolled: 2-line block ×7, first 2 shown]
	v_and_or_b32 v6, v32, s67, v6
	v_and_or_b32 v23, v10, s67, v11
	global_store_dwordx4 v[60:61], v[26:29], off nt
	global_store_dwordx4 v[60:61], v[6:9], off offset:1024 nt
	global_store_dwordx4 v[60:61], v[2:5], off offset:2048 nt
	global_store_dwordx4 v[60:61], v[20:23], off offset:3072 nt
	s_nop 0
	v_accvgpr_read_b32 v2, a22
	v_accvgpr_read_b32 v4, a30
	v_sub_u32_e32 v54, v54, v2
	v_accvgpr_read_b32 v5, a31
	v_cmp_gt_i32_e32 vcc, 1, v54
	v_lshl_add_u64 v[0:1], v[0:1], 0, v[4:5]
	v_lshl_add_u64 v[44:45], v[44:45], 0, v[4:5]
	s_or_b64 s[42:43], vcc, s[42:43]
	v_lshl_add_u64 v[60:61], v[60:61], 0, v[4:5]
	v_accvgpr_read_b32 v3, a23
	s_andn2_b64 exec, exec, s[42:43]
	s_cbranch_execz .LBB10_252
.LBB10_124:                             ;   Parent Loop BB10_49 Depth=1
                                        ; =>  This Inner Loop Header: Depth=2
	global_load_dwordx4 v[48:51], v[0:1], off nt
	global_load_dwordx4 v[32:35], v[0:1], off offset:1024 nt
	global_load_dwordx4 v[36:39], v[44:45], off nt
	global_load_dwordx4 v[22:25], v[0:1], off offset:2048 nt
	global_load_dwordx4 v[14:17], v[0:1], off offset:3072 nt
	;; [unrolled: 1-line block ×5, first 2 shown]
                                        ; implicit-def: $vgpr30
	s_waitcnt vmcnt(0)
	v_lshlrev_b32_e32 v4, 16, v48
	v_lshlrev_b32_e32 v2, 16, v36
	v_pk_mul_f32 v[2:3], v[2:3], v[4:5] op_sel_hi:[0,1]
	v_and_b32_e32 v3, 0x7f800000, v2
	v_cmp_ne_u32_e32 vcc, s65, v3
	s_and_saveexec_b64 s[44:45], vcc
	s_xor_b64 vcc, exec, s[44:45]
; %bb.125:                              ;   in Loop: Header=BB10_124 Depth=2
	v_bfe_u32 v3, v2, 16, 1
	v_add3_u32 v30, v2, v3, s66
                                        ; implicit-def: $vgpr2_vgpr3
; %bb.126:                              ;   in Loop: Header=BB10_124 Depth=2
	s_andn2_saveexec_b64 s[44:45], vcc
; %bb.127:                              ;   in Loop: Header=BB10_124 Depth=2
	v_or_b32_e32 v3, 0x10000, v2
	v_cmp_eq_u32_sdwa vcc, v2, v55 src0_sel:WORD_0 src1_sel:DWORD
	s_nop 1
	v_cndmask_b32_e32 v30, v3, v2, vcc
; %bb.128:                              ;   in Loop: Header=BB10_124 Depth=2
	s_or_b64 exec, exec, s[44:45]
	v_and_b32_e32 v2, 0xffff0000, v36
	v_and_b32_e32 v4, 0xffff0000, v48
	v_pk_mul_f32 v[2:3], v[2:3], v[4:5] op_sel_hi:[0,1]
	v_and_b32_e32 v3, 0x7f800000, v2
	v_cmp_ne_u32_e32 vcc, s65, v3
                                        ; implicit-def: $vgpr41
	s_and_saveexec_b64 s[44:45], vcc
	s_xor_b64 vcc, exec, s[44:45]
; %bb.129:                              ;   in Loop: Header=BB10_124 Depth=2
	v_bfe_u32 v3, v2, 16, 1
	v_add3_u32 v41, v2, v3, s66
                                        ; implicit-def: $vgpr2_vgpr3
; %bb.130:                              ;   in Loop: Header=BB10_124 Depth=2
	s_andn2_saveexec_b64 s[44:45], vcc
; %bb.131:                              ;   in Loop: Header=BB10_124 Depth=2
	v_or_b32_e32 v3, 0x10000, v2
	v_cmp_eq_u32_sdwa vcc, v2, v55 src0_sel:WORD_0 src1_sel:DWORD
	s_nop 1
	v_cndmask_b32_e32 v41, v3, v2, vcc
; %bb.132:                              ;   in Loop: Header=BB10_124 Depth=2
	s_or_b64 exec, exec, s[44:45]
	v_mov_b32_e32 v3, v37
	v_lshlrev_b32_e32 v2, 16, v3
	v_lshlrev_b32_e32 v4, 16, v49
	v_pk_mul_f32 v[36:37], v[2:3], v[4:5] op_sel_hi:[0,1]
	v_and_b32_e32 v2, 0x7f800000, v36
	v_cmp_ne_u32_e32 vcc, s65, v2
                                        ; implicit-def: $vgpr48
	s_and_saveexec_b64 s[44:45], vcc
	s_xor_b64 vcc, exec, s[44:45]
; %bb.133:                              ;   in Loop: Header=BB10_124 Depth=2
	v_bfe_u32 v2, v36, 16, 1
	v_add3_u32 v48, v36, v2, s66
                                        ; implicit-def: $vgpr36_vgpr37
; %bb.134:                              ;   in Loop: Header=BB10_124 Depth=2
	s_andn2_saveexec_b64 s[44:45], vcc
; %bb.135:                              ;   in Loop: Header=BB10_124 Depth=2
	v_or_b32_e32 v2, 0x10000, v36
	v_cmp_eq_u32_sdwa vcc, v36, v55 src0_sel:WORD_0 src1_sel:DWORD
	s_nop 1
	v_cndmask_b32_e32 v48, v2, v36, vcc
; %bb.136:                              ;   in Loop: Header=BB10_124 Depth=2
	s_or_b64 exec, exec, s[44:45]
	v_and_b32_e32 v2, 0xffff0000, v3
	v_and_b32_e32 v4, 0xffff0000, v49
	v_pk_mul_f32 v[2:3], v[2:3], v[4:5] op_sel_hi:[0,1]
	v_and_b32_e32 v3, 0x7f800000, v2
	v_cmp_ne_u32_e32 vcc, s65, v3
                                        ; implicit-def: $vgpr49
	s_and_saveexec_b64 s[44:45], vcc
	s_xor_b64 vcc, exec, s[44:45]
; %bb.137:                              ;   in Loop: Header=BB10_124 Depth=2
	v_bfe_u32 v3, v2, 16, 1
	v_add3_u32 v49, v2, v3, s66
                                        ; implicit-def: $vgpr2_vgpr3
; %bb.138:                              ;   in Loop: Header=BB10_124 Depth=2
	s_andn2_saveexec_b64 s[44:45], vcc
; %bb.139:                              ;   in Loop: Header=BB10_124 Depth=2
	v_or_b32_e32 v3, 0x10000, v2
	v_cmp_eq_u32_sdwa vcc, v2, v55 src0_sel:WORD_0 src1_sel:DWORD
	s_nop 1
	v_cndmask_b32_e32 v49, v3, v2, vcc
; %bb.140:                              ;   in Loop: Header=BB10_124 Depth=2
	s_or_b64 exec, exec, s[44:45]
	v_lshlrev_b32_e32 v2, 16, v38
	v_lshlrev_b32_e32 v4, 16, v50
	v_pk_mul_f32 v[2:3], v[2:3], v[4:5] op_sel_hi:[0,1]
	v_and_b32_e32 v3, 0x7f800000, v2
	v_cmp_ne_u32_e32 vcc, s65, v3
                                        ; implicit-def: $vgpr40
	s_and_saveexec_b64 s[44:45], vcc
	s_xor_b64 vcc, exec, s[44:45]
; %bb.141:                              ;   in Loop: Header=BB10_124 Depth=2
	v_bfe_u32 v3, v2, 16, 1
	v_add3_u32 v40, v2, v3, s66
                                        ; implicit-def: $vgpr2_vgpr3
; %bb.142:                              ;   in Loop: Header=BB10_124 Depth=2
	s_andn2_saveexec_b64 s[44:45], vcc
; %bb.143:                              ;   in Loop: Header=BB10_124 Depth=2
	v_or_b32_e32 v3, 0x10000, v2
	v_cmp_eq_u32_sdwa vcc, v2, v55 src0_sel:WORD_0 src1_sel:DWORD
	s_nop 1
	v_cndmask_b32_e32 v40, v3, v2, vcc
; %bb.144:                              ;   in Loop: Header=BB10_124 Depth=2
	s_or_b64 exec, exec, s[44:45]
	v_and_b32_e32 v2, 0xffff0000, v38
	v_and_b32_e32 v4, 0xffff0000, v50
	v_pk_mul_f32 v[2:3], v[2:3], v[4:5] op_sel_hi:[0,1]
	v_and_b32_e32 v3, 0x7f800000, v2
	v_cmp_ne_u32_e32 vcc, s65, v3
                                        ; implicit-def: $vgpr38
	s_and_saveexec_b64 s[44:45], vcc
	s_xor_b64 vcc, exec, s[44:45]
; %bb.145:                              ;   in Loop: Header=BB10_124 Depth=2
	v_bfe_u32 v3, v2, 16, 1
	v_add3_u32 v38, v2, v3, s66
                                        ; implicit-def: $vgpr2_vgpr3
; %bb.146:                              ;   in Loop: Header=BB10_124 Depth=2
	s_andn2_saveexec_b64 s[44:45], vcc
; %bb.147:                              ;   in Loop: Header=BB10_124 Depth=2
	v_or_b32_e32 v3, 0x10000, v2
	v_cmp_eq_u32_sdwa vcc, v2, v55 src0_sel:WORD_0 src1_sel:DWORD
	s_nop 1
	v_cndmask_b32_e32 v38, v3, v2, vcc
; %bb.148:                              ;   in Loop: Header=BB10_124 Depth=2
	s_or_b64 exec, exec, s[44:45]
	v_mov_b32_e32 v3, v51
	v_lshlrev_b32_e32 v2, 16, v39
	v_lshlrev_b32_e32 v4, 16, v3
	v_pk_mul_f32 v[36:37], v[2:3], v[4:5] op_sel_hi:[0,1]
	v_and_b32_e32 v2, 0x7f800000, v36
	v_cmp_ne_u32_e32 vcc, s65, v2
                                        ; implicit-def: $vgpr50
	s_and_saveexec_b64 s[44:45], vcc
	s_xor_b64 vcc, exec, s[44:45]
; %bb.149:                              ;   in Loop: Header=BB10_124 Depth=2
	v_bfe_u32 v2, v36, 16, 1
	v_add3_u32 v50, v36, v2, s66
                                        ; implicit-def: $vgpr36_vgpr37
; %bb.150:                              ;   in Loop: Header=BB10_124 Depth=2
	s_andn2_saveexec_b64 s[44:45], vcc
; %bb.151:                              ;   in Loop: Header=BB10_124 Depth=2
	v_or_b32_e32 v2, 0x10000, v36
	v_cmp_eq_u32_sdwa vcc, v36, v55 src0_sel:WORD_0 src1_sel:DWORD
	s_nop 1
	v_cndmask_b32_e32 v50, v2, v36, vcc
; %bb.152:                              ;   in Loop: Header=BB10_124 Depth=2
	s_or_b64 exec, exec, s[44:45]
	v_and_b32_e32 v2, 0xffff0000, v39
	v_and_b32_e32 v4, 0xffff0000, v3
	v_pk_mul_f32 v[2:3], v[2:3], v[4:5] op_sel_hi:[0,1]
	v_and_b32_e32 v3, 0x7f800000, v2
	v_cmp_ne_u32_e32 vcc, s65, v3
                                        ; implicit-def: $vgpr36
	s_and_saveexec_b64 s[44:45], vcc
	s_xor_b64 vcc, exec, s[44:45]
; %bb.153:                              ;   in Loop: Header=BB10_124 Depth=2
	v_bfe_u32 v3, v2, 16, 1
	v_add3_u32 v36, v2, v3, s66
                                        ; implicit-def: $vgpr2_vgpr3
; %bb.154:                              ;   in Loop: Header=BB10_124 Depth=2
	s_andn2_saveexec_b64 s[44:45], vcc
; %bb.155:                              ;   in Loop: Header=BB10_124 Depth=2
	v_or_b32_e32 v3, 0x10000, v2
	v_cmp_eq_u32_sdwa vcc, v2, v55 src0_sel:WORD_0 src1_sel:DWORD
	s_nop 1
	v_cndmask_b32_e32 v36, v3, v2, vcc
; %bb.156:                              ;   in Loop: Header=BB10_124 Depth=2
	s_or_b64 exec, exec, s[44:45]
	v_lshlrev_b32_e32 v2, 16, v26
	v_lshlrev_b32_e32 v4, 16, v32
	v_pk_mul_f32 v[2:3], v[2:3], v[4:5] op_sel_hi:[0,1]
	v_and_b32_e32 v3, 0x7f800000, v2
	v_cmp_ne_u32_e32 vcc, s65, v3
                                        ; implicit-def: $vgpr37
	s_and_saveexec_b64 s[44:45], vcc
	s_xor_b64 vcc, exec, s[44:45]
; %bb.157:                              ;   in Loop: Header=BB10_124 Depth=2
	v_bfe_u32 v3, v2, 16, 1
	v_add3_u32 v37, v2, v3, s66
                                        ; implicit-def: $vgpr2_vgpr3
; %bb.158:                              ;   in Loop: Header=BB10_124 Depth=2
	s_andn2_saveexec_b64 s[44:45], vcc
; %bb.159:                              ;   in Loop: Header=BB10_124 Depth=2
	v_or_b32_e32 v3, 0x10000, v2
	v_cmp_eq_u32_sdwa vcc, v2, v55 src0_sel:WORD_0 src1_sel:DWORD
	s_nop 1
	v_cndmask_b32_e32 v37, v3, v2, vcc
; %bb.160:                              ;   in Loop: Header=BB10_124 Depth=2
	s_or_b64 exec, exec, s[44:45]
	v_and_b32_e32 v2, 0xffff0000, v26
	v_and_b32_e32 v4, 0xffff0000, v32
	v_pk_mul_f32 v[2:3], v[2:3], v[4:5] op_sel_hi:[0,1]
	v_and_b32_e32 v3, 0x7f800000, v2
	v_cmp_ne_u32_e32 vcc, s65, v3
                                        ; implicit-def: $vgpr32
	s_and_saveexec_b64 s[44:45], vcc
	s_xor_b64 vcc, exec, s[44:45]
; %bb.161:                              ;   in Loop: Header=BB10_124 Depth=2
	v_bfe_u32 v3, v2, 16, 1
	v_add3_u32 v32, v2, v3, s66
                                        ; implicit-def: $vgpr2_vgpr3
; %bb.162:                              ;   in Loop: Header=BB10_124 Depth=2
	s_andn2_saveexec_b64 s[44:45], vcc
; %bb.163:                              ;   in Loop: Header=BB10_124 Depth=2
	v_or_b32_e32 v3, 0x10000, v2
	v_cmp_eq_u32_sdwa vcc, v2, v55 src0_sel:WORD_0 src1_sel:DWORD
	s_nop 1
	v_cndmask_b32_e32 v32, v3, v2, vcc
; %bb.164:                              ;   in Loop: Header=BB10_124 Depth=2
	s_or_b64 exec, exec, s[44:45]
	v_mov_b32_e32 v3, v27
	v_lshlrev_b32_e32 v2, 16, v3
	v_lshlrev_b32_e32 v4, 16, v33
	v_pk_mul_f32 v[26:27], v[2:3], v[4:5] op_sel_hi:[0,1]
	v_and_b32_e32 v2, 0x7f800000, v26
	v_cmp_ne_u32_e32 vcc, s65, v2
                                        ; implicit-def: $vgpr39
	s_and_saveexec_b64 s[44:45], vcc
	s_xor_b64 vcc, exec, s[44:45]
; %bb.165:                              ;   in Loop: Header=BB10_124 Depth=2
	v_bfe_u32 v2, v26, 16, 1
	v_add3_u32 v39, v26, v2, s66
                                        ; implicit-def: $vgpr26_vgpr27
; %bb.166:                              ;   in Loop: Header=BB10_124 Depth=2
	s_andn2_saveexec_b64 s[44:45], vcc
; %bb.167:                              ;   in Loop: Header=BB10_124 Depth=2
	v_or_b32_e32 v2, 0x10000, v26
	v_cmp_eq_u32_sdwa vcc, v26, v55 src0_sel:WORD_0 src1_sel:DWORD
	s_nop 1
	v_cndmask_b32_e32 v39, v2, v26, vcc
; %bb.168:                              ;   in Loop: Header=BB10_124 Depth=2
	s_or_b64 exec, exec, s[44:45]
	v_and_b32_e32 v2, 0xffff0000, v3
	v_and_b32_e32 v4, 0xffff0000, v33
	v_pk_mul_f32 v[2:3], v[2:3], v[4:5] op_sel_hi:[0,1]
	v_and_b32_e32 v3, 0x7f800000, v2
	v_cmp_ne_u32_e32 vcc, s65, v3
                                        ; implicit-def: $vgpr33
	s_and_saveexec_b64 s[44:45], vcc
	s_xor_b64 vcc, exec, s[44:45]
; %bb.169:                              ;   in Loop: Header=BB10_124 Depth=2
	v_bfe_u32 v3, v2, 16, 1
	v_add3_u32 v33, v2, v3, s66
                                        ; implicit-def: $vgpr2_vgpr3
; %bb.170:                              ;   in Loop: Header=BB10_124 Depth=2
	s_andn2_saveexec_b64 s[44:45], vcc
; %bb.171:                              ;   in Loop: Header=BB10_124 Depth=2
	v_or_b32_e32 v3, 0x10000, v2
	v_cmp_eq_u32_sdwa vcc, v2, v55 src0_sel:WORD_0 src1_sel:DWORD
	s_nop 1
	v_cndmask_b32_e32 v33, v3, v2, vcc
; %bb.172:                              ;   in Loop: Header=BB10_124 Depth=2
	s_or_b64 exec, exec, s[44:45]
	v_lshlrev_b32_e32 v2, 16, v28
	v_lshlrev_b32_e32 v4, 16, v34
	v_pk_mul_f32 v[2:3], v[2:3], v[4:5] op_sel_hi:[0,1]
	v_and_b32_e32 v3, 0x7f800000, v2
	v_cmp_ne_u32_e32 vcc, s65, v3
                                        ; implicit-def: $vgpr51
	s_and_saveexec_b64 s[44:45], vcc
	s_xor_b64 vcc, exec, s[44:45]
; %bb.173:                              ;   in Loop: Header=BB10_124 Depth=2
	v_bfe_u32 v3, v2, 16, 1
	v_add3_u32 v51, v2, v3, s66
                                        ; implicit-def: $vgpr2_vgpr3
; %bb.174:                              ;   in Loop: Header=BB10_124 Depth=2
	s_andn2_saveexec_b64 s[44:45], vcc
; %bb.175:                              ;   in Loop: Header=BB10_124 Depth=2
	v_or_b32_e32 v3, 0x10000, v2
	v_cmp_eq_u32_sdwa vcc, v2, v55 src0_sel:WORD_0 src1_sel:DWORD
	s_nop 1
	v_cndmask_b32_e32 v51, v3, v2, vcc
; %bb.176:                              ;   in Loop: Header=BB10_124 Depth=2
	s_or_b64 exec, exec, s[44:45]
	v_and_b32_e32 v2, 0xffff0000, v28
	v_and_b32_e32 v4, 0xffff0000, v34
	v_pk_mul_f32 v[2:3], v[2:3], v[4:5] op_sel_hi:[0,1]
	v_and_b32_e32 v3, 0x7f800000, v2
	v_cmp_ne_u32_e32 vcc, s65, v3
                                        ; implicit-def: $vgpr28
	s_and_saveexec_b64 s[44:45], vcc
	s_xor_b64 vcc, exec, s[44:45]
; %bb.177:                              ;   in Loop: Header=BB10_124 Depth=2
	v_bfe_u32 v3, v2, 16, 1
	v_add3_u32 v28, v2, v3, s66
                                        ; implicit-def: $vgpr2_vgpr3
; %bb.178:                              ;   in Loop: Header=BB10_124 Depth=2
	s_andn2_saveexec_b64 s[44:45], vcc
; %bb.179:                              ;   in Loop: Header=BB10_124 Depth=2
	v_or_b32_e32 v3, 0x10000, v2
	v_cmp_eq_u32_sdwa vcc, v2, v55 src0_sel:WORD_0 src1_sel:DWORD
	s_nop 1
	v_cndmask_b32_e32 v28, v3, v2, vcc
; %bb.180:                              ;   in Loop: Header=BB10_124 Depth=2
	s_or_b64 exec, exec, s[44:45]
	v_mov_b32_e32 v3, v35
	v_lshlrev_b32_e32 v2, 16, v29
	v_lshlrev_b32_e32 v4, 16, v3
	v_pk_mul_f32 v[26:27], v[2:3], v[4:5] op_sel_hi:[0,1]
	v_and_b32_e32 v2, 0x7f800000, v26
	v_cmp_ne_u32_e32 vcc, s65, v2
                                        ; implicit-def: $vgpr34
	s_and_saveexec_b64 s[44:45], vcc
	s_xor_b64 vcc, exec, s[44:45]
; %bb.181:                              ;   in Loop: Header=BB10_124 Depth=2
	v_bfe_u32 v2, v26, 16, 1
	v_add3_u32 v34, v26, v2, s66
                                        ; implicit-def: $vgpr26_vgpr27
; %bb.182:                              ;   in Loop: Header=BB10_124 Depth=2
	s_andn2_saveexec_b64 s[44:45], vcc
; %bb.183:                              ;   in Loop: Header=BB10_124 Depth=2
	v_or_b32_e32 v2, 0x10000, v26
	v_cmp_eq_u32_sdwa vcc, v26, v55 src0_sel:WORD_0 src1_sel:DWORD
	s_nop 1
	v_cndmask_b32_e32 v34, v2, v26, vcc
; %bb.184:                              ;   in Loop: Header=BB10_124 Depth=2
	s_or_b64 exec, exec, s[44:45]
	v_and_b32_e32 v2, 0xffff0000, v29
	v_and_b32_e32 v4, 0xffff0000, v3
	v_pk_mul_f32 v[2:3], v[2:3], v[4:5] op_sel_hi:[0,1]
	v_and_b32_e32 v3, 0x7f800000, v2
	v_cmp_ne_u32_e32 vcc, s65, v3
                                        ; implicit-def: $vgpr26
	s_and_saveexec_b64 s[44:45], vcc
	s_xor_b64 vcc, exec, s[44:45]
; %bb.185:                              ;   in Loop: Header=BB10_124 Depth=2
	v_bfe_u32 v3, v2, 16, 1
	v_add3_u32 v26, v2, v3, s66
                                        ; implicit-def: $vgpr2_vgpr3
; %bb.186:                              ;   in Loop: Header=BB10_124 Depth=2
	s_andn2_saveexec_b64 s[44:45], vcc
; %bb.187:                              ;   in Loop: Header=BB10_124 Depth=2
	v_or_b32_e32 v3, 0x10000, v2
	v_cmp_eq_u32_sdwa vcc, v2, v55 src0_sel:WORD_0 src1_sel:DWORD
	s_nop 1
	v_cndmask_b32_e32 v26, v3, v2, vcc
; %bb.188:                              ;   in Loop: Header=BB10_124 Depth=2
	s_or_b64 exec, exec, s[44:45]
	v_lshlrev_b32_e32 v2, 16, v18
	v_lshlrev_b32_e32 v4, 16, v22
	v_pk_mul_f32 v[2:3], v[2:3], v[4:5] op_sel_hi:[0,1]
	v_and_b32_e32 v3, 0x7f800000, v2
	v_cmp_ne_u32_e32 vcc, s65, v3
                                        ; implicit-def: $vgpr27
	s_and_saveexec_b64 s[44:45], vcc
	s_xor_b64 vcc, exec, s[44:45]
; %bb.189:                              ;   in Loop: Header=BB10_124 Depth=2
	v_bfe_u32 v3, v2, 16, 1
	v_add3_u32 v27, v2, v3, s66
                                        ; implicit-def: $vgpr2_vgpr3
; %bb.190:                              ;   in Loop: Header=BB10_124 Depth=2
	s_andn2_saveexec_b64 s[44:45], vcc
; %bb.191:                              ;   in Loop: Header=BB10_124 Depth=2
	v_or_b32_e32 v3, 0x10000, v2
	v_cmp_eq_u32_sdwa vcc, v2, v55 src0_sel:WORD_0 src1_sel:DWORD
	s_nop 1
	v_cndmask_b32_e32 v27, v3, v2, vcc
; %bb.192:                              ;   in Loop: Header=BB10_124 Depth=2
	s_or_b64 exec, exec, s[44:45]
	v_and_b32_e32 v2, 0xffff0000, v18
	v_and_b32_e32 v4, 0xffff0000, v22
	v_pk_mul_f32 v[2:3], v[2:3], v[4:5] op_sel_hi:[0,1]
	v_and_b32_e32 v3, 0x7f800000, v2
	v_cmp_ne_u32_e32 vcc, s65, v3
                                        ; implicit-def: $vgpr22
	s_and_saveexec_b64 s[44:45], vcc
	s_xor_b64 vcc, exec, s[44:45]
; %bb.193:                              ;   in Loop: Header=BB10_124 Depth=2
	v_bfe_u32 v3, v2, 16, 1
	v_add3_u32 v22, v2, v3, s66
                                        ; implicit-def: $vgpr2_vgpr3
; %bb.194:                              ;   in Loop: Header=BB10_124 Depth=2
	s_andn2_saveexec_b64 s[44:45], vcc
; %bb.195:                              ;   in Loop: Header=BB10_124 Depth=2
	v_or_b32_e32 v3, 0x10000, v2
	v_cmp_eq_u32_sdwa vcc, v2, v55 src0_sel:WORD_0 src1_sel:DWORD
	s_nop 1
	v_cndmask_b32_e32 v22, v3, v2, vcc
; %bb.196:                              ;   in Loop: Header=BB10_124 Depth=2
	s_or_b64 exec, exec, s[44:45]
	v_mov_b32_e32 v3, v19
	v_lshlrev_b32_e32 v2, 16, v3
	v_lshlrev_b32_e32 v4, 16, v23
	v_pk_mul_f32 v[18:19], v[2:3], v[4:5] op_sel_hi:[0,1]
	v_and_b32_e32 v2, 0x7f800000, v18
	v_cmp_ne_u32_e32 vcc, s65, v2
                                        ; implicit-def: $vgpr29
	s_and_saveexec_b64 s[44:45], vcc
	s_xor_b64 vcc, exec, s[44:45]
; %bb.197:                              ;   in Loop: Header=BB10_124 Depth=2
	v_bfe_u32 v2, v18, 16, 1
	v_add3_u32 v29, v18, v2, s66
                                        ; implicit-def: $vgpr18_vgpr19
; %bb.198:                              ;   in Loop: Header=BB10_124 Depth=2
	s_andn2_saveexec_b64 s[44:45], vcc
; %bb.199:                              ;   in Loop: Header=BB10_124 Depth=2
	v_or_b32_e32 v2, 0x10000, v18
	v_cmp_eq_u32_sdwa vcc, v18, v55 src0_sel:WORD_0 src1_sel:DWORD
	s_nop 1
	v_cndmask_b32_e32 v29, v2, v18, vcc
; %bb.200:                              ;   in Loop: Header=BB10_124 Depth=2
	s_or_b64 exec, exec, s[44:45]
	v_and_b32_e32 v2, 0xffff0000, v3
	v_and_b32_e32 v4, 0xffff0000, v23
	v_pk_mul_f32 v[2:3], v[2:3], v[4:5] op_sel_hi:[0,1]
	v_and_b32_e32 v3, 0x7f800000, v2
	v_cmp_ne_u32_e32 vcc, s65, v3
                                        ; implicit-def: $vgpr23
	s_and_saveexec_b64 s[44:45], vcc
	s_xor_b64 vcc, exec, s[44:45]
; %bb.201:                              ;   in Loop: Header=BB10_124 Depth=2
	v_bfe_u32 v3, v2, 16, 1
	v_add3_u32 v23, v2, v3, s66
                                        ; implicit-def: $vgpr2_vgpr3
; %bb.202:                              ;   in Loop: Header=BB10_124 Depth=2
	s_andn2_saveexec_b64 s[44:45], vcc
; %bb.203:                              ;   in Loop: Header=BB10_124 Depth=2
	v_or_b32_e32 v3, 0x10000, v2
	v_cmp_eq_u32_sdwa vcc, v2, v55 src0_sel:WORD_0 src1_sel:DWORD
	s_nop 1
	v_cndmask_b32_e32 v23, v3, v2, vcc
; %bb.204:                              ;   in Loop: Header=BB10_124 Depth=2
	s_or_b64 exec, exec, s[44:45]
	v_lshlrev_b32_e32 v2, 16, v20
	v_lshlrev_b32_e32 v4, 16, v24
	v_pk_mul_f32 v[2:3], v[2:3], v[4:5] op_sel_hi:[0,1]
	v_and_b32_e32 v3, 0x7f800000, v2
	v_cmp_ne_u32_e32 vcc, s65, v3
                                        ; implicit-def: $vgpr35
	s_and_saveexec_b64 s[44:45], vcc
	s_xor_b64 vcc, exec, s[44:45]
; %bb.205:                              ;   in Loop: Header=BB10_124 Depth=2
	v_bfe_u32 v3, v2, 16, 1
	v_add3_u32 v35, v2, v3, s66
                                        ; implicit-def: $vgpr2_vgpr3
; %bb.206:                              ;   in Loop: Header=BB10_124 Depth=2
	s_andn2_saveexec_b64 s[44:45], vcc
; %bb.207:                              ;   in Loop: Header=BB10_124 Depth=2
	v_or_b32_e32 v3, 0x10000, v2
	v_cmp_eq_u32_sdwa vcc, v2, v55 src0_sel:WORD_0 src1_sel:DWORD
	s_nop 1
	v_cndmask_b32_e32 v35, v3, v2, vcc
; %bb.208:                              ;   in Loop: Header=BB10_124 Depth=2
	s_or_b64 exec, exec, s[44:45]
	v_and_b32_e32 v2, 0xffff0000, v20
	v_and_b32_e32 v4, 0xffff0000, v24
	v_pk_mul_f32 v[2:3], v[2:3], v[4:5] op_sel_hi:[0,1]
	v_and_b32_e32 v3, 0x7f800000, v2
	v_cmp_ne_u32_e32 vcc, s65, v3
                                        ; implicit-def: $vgpr20
	s_and_saveexec_b64 s[44:45], vcc
	s_xor_b64 vcc, exec, s[44:45]
; %bb.209:                              ;   in Loop: Header=BB10_124 Depth=2
	v_bfe_u32 v3, v2, 16, 1
	v_add3_u32 v20, v2, v3, s66
                                        ; implicit-def: $vgpr2_vgpr3
; %bb.210:                              ;   in Loop: Header=BB10_124 Depth=2
	s_andn2_saveexec_b64 s[44:45], vcc
; %bb.211:                              ;   in Loop: Header=BB10_124 Depth=2
	v_or_b32_e32 v3, 0x10000, v2
	v_cmp_eq_u32_sdwa vcc, v2, v55 src0_sel:WORD_0 src1_sel:DWORD
	s_nop 1
	v_cndmask_b32_e32 v20, v3, v2, vcc
; %bb.212:                              ;   in Loop: Header=BB10_124 Depth=2
	s_or_b64 exec, exec, s[44:45]
	v_mov_b32_e32 v3, v25
	v_lshlrev_b32_e32 v2, 16, v21
	v_lshlrev_b32_e32 v4, 16, v3
	v_pk_mul_f32 v[18:19], v[2:3], v[4:5] op_sel_hi:[0,1]
	v_and_b32_e32 v2, 0x7f800000, v18
	v_cmp_ne_u32_e32 vcc, s65, v2
                                        ; implicit-def: $vgpr24
	s_and_saveexec_b64 s[44:45], vcc
	s_xor_b64 vcc, exec, s[44:45]
; %bb.213:                              ;   in Loop: Header=BB10_124 Depth=2
	v_bfe_u32 v2, v18, 16, 1
	v_add3_u32 v24, v18, v2, s66
                                        ; implicit-def: $vgpr18_vgpr19
; %bb.214:                              ;   in Loop: Header=BB10_124 Depth=2
	s_andn2_saveexec_b64 s[44:45], vcc
; %bb.215:                              ;   in Loop: Header=BB10_124 Depth=2
	v_or_b32_e32 v2, 0x10000, v18
	v_cmp_eq_u32_sdwa vcc, v18, v55 src0_sel:WORD_0 src1_sel:DWORD
	s_nop 1
	v_cndmask_b32_e32 v24, v2, v18, vcc
; %bb.216:                              ;   in Loop: Header=BB10_124 Depth=2
	s_or_b64 exec, exec, s[44:45]
	v_and_b32_e32 v2, 0xffff0000, v21
	v_and_b32_e32 v4, 0xffff0000, v3
	v_pk_mul_f32 v[2:3], v[2:3], v[4:5] op_sel_hi:[0,1]
	v_and_b32_e32 v3, 0x7f800000, v2
	v_cmp_ne_u32_e32 vcc, s65, v3
                                        ; implicit-def: $vgpr18
	s_and_saveexec_b64 s[44:45], vcc
	s_xor_b64 vcc, exec, s[44:45]
; %bb.217:                              ;   in Loop: Header=BB10_124 Depth=2
	v_bfe_u32 v3, v2, 16, 1
	v_add3_u32 v18, v2, v3, s66
                                        ; implicit-def: $vgpr2_vgpr3
; %bb.218:                              ;   in Loop: Header=BB10_124 Depth=2
	s_andn2_saveexec_b64 s[44:45], vcc
; %bb.219:                              ;   in Loop: Header=BB10_124 Depth=2
	v_or_b32_e32 v3, 0x10000, v2
	v_cmp_eq_u32_sdwa vcc, v2, v55 src0_sel:WORD_0 src1_sel:DWORD
	s_nop 1
	v_cndmask_b32_e32 v18, v3, v2, vcc
; %bb.220:                              ;   in Loop: Header=BB10_124 Depth=2
	s_or_b64 exec, exec, s[44:45]
	v_lshlrev_b32_e32 v2, 16, v10
	v_lshlrev_b32_e32 v4, 16, v14
	v_pk_mul_f32 v[2:3], v[2:3], v[4:5] op_sel_hi:[0,1]
	v_and_b32_e32 v3, 0x7f800000, v2
	v_cmp_ne_u32_e32 vcc, s65, v3
                                        ; implicit-def: $vgpr19
	s_and_saveexec_b64 s[44:45], vcc
	s_xor_b64 vcc, exec, s[44:45]
; %bb.221:                              ;   in Loop: Header=BB10_124 Depth=2
	v_bfe_u32 v3, v2, 16, 1
	v_add3_u32 v19, v2, v3, s66
                                        ; implicit-def: $vgpr2_vgpr3
; %bb.222:                              ;   in Loop: Header=BB10_124 Depth=2
	s_andn2_saveexec_b64 s[44:45], vcc
; %bb.223:                              ;   in Loop: Header=BB10_124 Depth=2
	v_or_b32_e32 v3, 0x10000, v2
	v_cmp_eq_u32_sdwa vcc, v2, v55 src0_sel:WORD_0 src1_sel:DWORD
	s_nop 1
	v_cndmask_b32_e32 v19, v3, v2, vcc
; %bb.224:                              ;   in Loop: Header=BB10_124 Depth=2
	s_or_b64 exec, exec, s[44:45]
	v_and_b32_e32 v2, 0xffff0000, v10
	v_and_b32_e32 v4, 0xffff0000, v14
	v_pk_mul_f32 v[2:3], v[2:3], v[4:5] op_sel_hi:[0,1]
	v_and_b32_e32 v3, 0x7f800000, v2
	v_cmp_ne_u32_e32 vcc, s65, v3
                                        ; implicit-def: $vgpr14
	s_and_saveexec_b64 s[44:45], vcc
	s_xor_b64 vcc, exec, s[44:45]
; %bb.225:                              ;   in Loop: Header=BB10_124 Depth=2
	v_bfe_u32 v3, v2, 16, 1
	v_add3_u32 v14, v2, v3, s66
                                        ; implicit-def: $vgpr2_vgpr3
; %bb.226:                              ;   in Loop: Header=BB10_124 Depth=2
	s_andn2_saveexec_b64 s[44:45], vcc
; %bb.227:                              ;   in Loop: Header=BB10_124 Depth=2
	v_or_b32_e32 v3, 0x10000, v2
	v_cmp_eq_u32_sdwa vcc, v2, v55 src0_sel:WORD_0 src1_sel:DWORD
	s_nop 1
	v_cndmask_b32_e32 v14, v3, v2, vcc
; %bb.228:                              ;   in Loop: Header=BB10_124 Depth=2
	s_or_b64 exec, exec, s[44:45]
	v_mov_b32_e32 v3, v11
	v_lshlrev_b32_e32 v2, 16, v3
	v_lshlrev_b32_e32 v4, 16, v15
	v_pk_mul_f32 v[10:11], v[2:3], v[4:5] op_sel_hi:[0,1]
	v_and_b32_e32 v2, 0x7f800000, v10
	v_cmp_ne_u32_e32 vcc, s65, v2
                                        ; implicit-def: $vgpr21
	s_and_saveexec_b64 s[44:45], vcc
	s_xor_b64 vcc, exec, s[44:45]
; %bb.229:                              ;   in Loop: Header=BB10_124 Depth=2
	v_bfe_u32 v2, v10, 16, 1
	v_add3_u32 v21, v10, v2, s66
                                        ; implicit-def: $vgpr10_vgpr11
; %bb.230:                              ;   in Loop: Header=BB10_124 Depth=2
	s_andn2_saveexec_b64 s[44:45], vcc
; %bb.231:                              ;   in Loop: Header=BB10_124 Depth=2
	v_or_b32_e32 v2, 0x10000, v10
	v_cmp_eq_u32_sdwa vcc, v10, v55 src0_sel:WORD_0 src1_sel:DWORD
	s_nop 1
	v_cndmask_b32_e32 v21, v2, v10, vcc
; %bb.232:                              ;   in Loop: Header=BB10_124 Depth=2
	s_or_b64 exec, exec, s[44:45]
	v_and_b32_e32 v2, 0xffff0000, v3
	v_and_b32_e32 v4, 0xffff0000, v15
	v_pk_mul_f32 v[2:3], v[2:3], v[4:5] op_sel_hi:[0,1]
	v_and_b32_e32 v3, 0x7f800000, v2
	v_cmp_ne_u32_e32 vcc, s65, v3
                                        ; implicit-def: $vgpr15
	s_and_saveexec_b64 s[44:45], vcc
	s_xor_b64 vcc, exec, s[44:45]
; %bb.233:                              ;   in Loop: Header=BB10_124 Depth=2
	v_bfe_u32 v3, v2, 16, 1
	v_add3_u32 v15, v2, v3, s66
                                        ; implicit-def: $vgpr2_vgpr3
; %bb.234:                              ;   in Loop: Header=BB10_124 Depth=2
	s_andn2_saveexec_b64 s[44:45], vcc
; %bb.235:                              ;   in Loop: Header=BB10_124 Depth=2
	v_or_b32_e32 v3, 0x10000, v2
	v_cmp_eq_u32_sdwa vcc, v2, v55 src0_sel:WORD_0 src1_sel:DWORD
	s_nop 1
	v_cndmask_b32_e32 v15, v3, v2, vcc
; %bb.236:                              ;   in Loop: Header=BB10_124 Depth=2
	s_or_b64 exec, exec, s[44:45]
	v_lshlrev_b32_e32 v2, 16, v12
	v_lshlrev_b32_e32 v4, 16, v16
	v_pk_mul_f32 v[2:3], v[2:3], v[4:5] op_sel_hi:[0,1]
	v_and_b32_e32 v3, 0x7f800000, v2
	v_cmp_ne_u32_e32 vcc, s65, v3
                                        ; implicit-def: $vgpr25
	s_and_saveexec_b64 s[44:45], vcc
	s_xor_b64 vcc, exec, s[44:45]
; %bb.237:                              ;   in Loop: Header=BB10_124 Depth=2
	v_bfe_u32 v3, v2, 16, 1
	v_add3_u32 v25, v2, v3, s66
                                        ; implicit-def: $vgpr2_vgpr3
; %bb.238:                              ;   in Loop: Header=BB10_124 Depth=2
	s_andn2_saveexec_b64 s[44:45], vcc
; %bb.239:                              ;   in Loop: Header=BB10_124 Depth=2
	v_or_b32_e32 v3, 0x10000, v2
	v_cmp_eq_u32_sdwa vcc, v2, v55 src0_sel:WORD_0 src1_sel:DWORD
	s_nop 1
	v_cndmask_b32_e32 v25, v3, v2, vcc
; %bb.240:                              ;   in Loop: Header=BB10_124 Depth=2
	s_or_b64 exec, exec, s[44:45]
	v_and_b32_e32 v2, 0xffff0000, v12
	v_and_b32_e32 v4, 0xffff0000, v16
	v_pk_mul_f32 v[2:3], v[2:3], v[4:5] op_sel_hi:[0,1]
	v_and_b32_e32 v3, 0x7f800000, v2
	v_cmp_ne_u32_e32 vcc, s65, v3
                                        ; implicit-def: $vgpr12
	s_and_saveexec_b64 s[44:45], vcc
	s_xor_b64 vcc, exec, s[44:45]
; %bb.241:                              ;   in Loop: Header=BB10_124 Depth=2
	v_bfe_u32 v3, v2, 16, 1
	v_add3_u32 v12, v2, v3, s66
                                        ; implicit-def: $vgpr2_vgpr3
; %bb.242:                              ;   in Loop: Header=BB10_124 Depth=2
	s_andn2_saveexec_b64 s[44:45], vcc
; %bb.243:                              ;   in Loop: Header=BB10_124 Depth=2
	v_or_b32_e32 v3, 0x10000, v2
	v_cmp_eq_u32_sdwa vcc, v2, v55 src0_sel:WORD_0 src1_sel:DWORD
	s_nop 1
	v_cndmask_b32_e32 v12, v3, v2, vcc
; %bb.244:                              ;   in Loop: Header=BB10_124 Depth=2
	s_or_b64 exec, exec, s[44:45]
	v_mov_b32_e32 v3, v17
	v_lshlrev_b32_e32 v2, 16, v13
	v_lshlrev_b32_e32 v4, 16, v3
	v_pk_mul_f32 v[10:11], v[2:3], v[4:5] op_sel_hi:[0,1]
	v_and_b32_e32 v2, 0x7f800000, v10
	v_cmp_ne_u32_e32 vcc, s65, v2
                                        ; implicit-def: $vgpr16
	s_and_saveexec_b64 s[44:45], vcc
	s_xor_b64 vcc, exec, s[44:45]
; %bb.245:                              ;   in Loop: Header=BB10_124 Depth=2
	v_bfe_u32 v2, v10, 16, 1
	v_add3_u32 v16, v10, v2, s66
                                        ; implicit-def: $vgpr10_vgpr11
; %bb.246:                              ;   in Loop: Header=BB10_124 Depth=2
	s_andn2_saveexec_b64 s[44:45], vcc
; %bb.247:                              ;   in Loop: Header=BB10_124 Depth=2
	v_or_b32_e32 v2, 0x10000, v10
	v_cmp_eq_u32_sdwa vcc, v10, v55 src0_sel:WORD_0 src1_sel:DWORD
	s_nop 1
	v_cndmask_b32_e32 v16, v2, v10, vcc
; %bb.248:                              ;   in Loop: Header=BB10_124 Depth=2
	s_or_b64 exec, exec, s[44:45]
	v_and_b32_e32 v2, 0xffff0000, v13
	v_and_b32_e32 v4, 0xffff0000, v3
	v_pk_mul_f32 v[2:3], v[2:3], v[4:5] op_sel_hi:[0,1]
	v_and_b32_e32 v3, 0x7f800000, v2
	v_cmp_ne_u32_e32 vcc, s65, v3
                                        ; implicit-def: $vgpr10
	s_and_saveexec_b64 s[44:45], vcc
	s_xor_b64 vcc, exec, s[44:45]
; %bb.249:                              ;   in Loop: Header=BB10_124 Depth=2
	v_bfe_u32 v3, v2, 16, 1
	v_add3_u32 v10, v2, v3, s66
                                        ; implicit-def: $vgpr2_vgpr3
; %bb.250:                              ;   in Loop: Header=BB10_124 Depth=2
	s_andn2_saveexec_b64 s[44:45], vcc
	s_cbranch_execz .LBB10_123
; %bb.251:                              ;   in Loop: Header=BB10_124 Depth=2
	v_or_b32_e32 v3, 0x10000, v2
	v_cmp_eq_u32_sdwa vcc, v2, v55 src0_sel:WORD_0 src1_sel:DWORD
	s_nop 1
	v_cndmask_b32_e32 v10, v3, v2, vcc
	s_branch .LBB10_123
.LBB10_252:                             ;   in Loop: Header=BB10_49 Depth=1
	s_or_b64 exec, exec, s[42:43]
	v_accvgpr_read_b32 v41, a3
	v_accvgpr_read_b32 v33, a5
	;; [unrolled: 1-line block ×15, first 2 shown]
.LBB10_253:                             ;   in Loop: Header=BB10_49 Depth=1
	s_or_b64 exec, exec, s[18:19]
	v_lshlrev_b32_e32 v22, 12, v0
	v_cmp_ne_u32_e32 vcc, v48, v22
	s_mov_b64 s[44:45], 0
	v_mov_b32_e32 v14, 0
                                        ; implicit-def: $vgpr15
                                        ; implicit-def: $vgpr0
	s_and_saveexec_b64 s[42:43], vcc
	s_cbranch_execz .LBB10_293
; %bb.254:                              ;   in Loop: Header=BB10_49 Depth=1
	v_lshlrev_b32_e32 v0, 6, v54
	v_accvgpr_read_b32 v2, a15
	v_sub_u32_e32 v0, v2, v0
	v_ashrrev_i32_e32 v2, 31, v0
	v_lshrrev_b32_e32 v2, 26, v2
	v_add_u32_e32 v2, v0, v2
	v_sub_u32_e32 v1, v48, v22
	v_ashrrev_i32_e32 v3, 6, v2
	v_and_b32_e32 v2, 0xffffffc0, v2
	v_sub_u32_e32 v23, v0, v2
	v_ashrrev_i32_e32 v2, 31, v1
	v_lshrrev_b32_e32 v2, 22, v2
	v_add_u32_e32 v2, v1, v2
	v_and_b32_e32 v24, 0xfffffc00, v2
	v_lshlrev_b32_e32 v0, 4, v23
	v_sub_u32_e32 v26, v1, v24
	v_lshl_add_u32 v0, v3, 10, v0
	v_ashrrev_i32_e32 v4, 10, v2
	v_cmp_lt_i32_e32 vcc, 15, v26
	v_sub_u32_e32 v27, v1, v0
	s_nop 0
	v_addc_co_u32_e64 v1, s[18:19], 0, v4, vcc
	v_sub_u32_e32 v25, v1, v3
	v_cmp_lt_i32_e64 s[18:19], 15, v27
	s_and_saveexec_b64 s[44:45], s[18:19]
	s_cbranch_execz .LBB10_290
; %bb.255:                              ;   in Loop: Header=BB10_49 Depth=1
	s_trap 2
	ds_read_b128 v[2:5], v0
	ds_read_b64 v[6:7], v0
	v_add_u32_e32 v8, v0, v22
	v_ashrrev_i32_e32 v9, 31, v8
	s_mov_b64 s[46:47], 0
	s_waitcnt lgkmcnt(0)
	v_lshl_add_u64 v[0:1], v[2:3], 0, v[8:9]
	v_lshl_add_u64 v[18:19], v[4:5], 0, v[8:9]
	;; [unrolled: 1-line block ×3, first 2 shown]
	s_branch .LBB10_257
.LBB10_256:                             ;   in Loop: Header=BB10_257 Depth=2
	s_or_b64 exec, exec, s[48:49]
	v_lshrrev_b32_e32 v2, 16, v29
	v_and_or_b32 v3, v15, s67, v2
	v_lshrrev_b32_e32 v2, 16, v28
	v_lshrrev_b32_e32 v4, 16, v30
	;; [unrolled: 1-line block ×3, first 2 shown]
	v_and_or_b32 v2, v14, s67, v2
	v_and_or_b32 v4, v12, s67, v4
	;; [unrolled: 1-line block ×3, first 2 shown]
	global_store_dwordx4 v[20:21], v[2:5], off nt
	v_sub_u32_e32 v27, v27, v36
	v_cmp_gt_i32_e64 s[18:19], 16, v27
	v_accvgpr_read_b32 v2, a32
	v_accvgpr_read_b32 v3, a33
	v_lshl_add_u64 v[0:1], v[0:1], 0, v[2:3]
	v_lshl_add_u64 v[18:19], v[18:19], 0, v[2:3]
	;; [unrolled: 1-line block ×3, first 2 shown]
	v_accvgpr_read_b32 v2, a22
	s_or_b64 s[46:47], s[18:19], s[46:47]
	v_sub_u32_e32 v25, v25, v2
	v_accvgpr_read_b32 v3, a23
	s_andn2_b64 exec, exec, s[46:47]
	s_cbranch_execz .LBB10_289
.LBB10_257:                             ;   Parent Loop BB10_49 Depth=1
                                        ; =>  This Inner Loop Header: Depth=2
	global_load_dwordx4 v[10:13], v[18:19], off nt
	global_load_dwordx4 v[14:17], v[0:1], off nt
                                        ; implicit-def: $vgpr28
	s_waitcnt vmcnt(0)
	v_lshlrev_b32_e32 v2, 16, v10
	v_lshlrev_b32_e32 v4, 16, v14
	v_pk_mul_f32 v[2:3], v[2:3], v[4:5] op_sel_hi:[0,1]
	v_and_b32_e32 v3, 0x7f800000, v2
	v_cmp_ne_u32_e64 s[18:19], s65, v3
	s_and_saveexec_b64 s[48:49], s[18:19]
	s_xor_b64 s[18:19], exec, s[48:49]
; %bb.258:                              ;   in Loop: Header=BB10_257 Depth=2
	v_bfe_u32 v3, v2, 16, 1
	v_add3_u32 v28, v2, v3, s66
                                        ; implicit-def: $vgpr2_vgpr3
; %bb.259:                              ;   in Loop: Header=BB10_257 Depth=2
	s_andn2_saveexec_b64 s[48:49], s[18:19]
; %bb.260:                              ;   in Loop: Header=BB10_257 Depth=2
	v_or_b32_e32 v3, 0x10000, v2
	v_cmp_eq_u32_sdwa s[18:19], v2, v55 src0_sel:WORD_0 src1_sel:DWORD
	s_nop 1
	v_cndmask_b32_e64 v28, v3, v2, s[18:19]
; %bb.261:                              ;   in Loop: Header=BB10_257 Depth=2
	s_or_b64 exec, exec, s[48:49]
	v_and_b32_e32 v2, 0xffff0000, v10
	v_and_b32_e32 v4, 0xffff0000, v14
	v_pk_mul_f32 v[2:3], v[2:3], v[4:5] op_sel_hi:[0,1]
	v_and_b32_e32 v3, 0x7f800000, v2
	v_cmp_ne_u32_e64 s[18:19], s65, v3
                                        ; implicit-def: $vgpr14
	s_and_saveexec_b64 s[48:49], s[18:19]
	s_xor_b64 s[18:19], exec, s[48:49]
; %bb.262:                              ;   in Loop: Header=BB10_257 Depth=2
	v_bfe_u32 v3, v2, 16, 1
	v_add3_u32 v14, v2, v3, s66
                                        ; implicit-def: $vgpr2_vgpr3
; %bb.263:                              ;   in Loop: Header=BB10_257 Depth=2
	s_andn2_saveexec_b64 s[48:49], s[18:19]
; %bb.264:                              ;   in Loop: Header=BB10_257 Depth=2
	v_or_b32_e32 v3, 0x10000, v2
	v_cmp_eq_u32_sdwa s[18:19], v2, v55 src0_sel:WORD_0 src1_sel:DWORD
	s_nop 1
	v_cndmask_b32_e64 v14, v3, v2, s[18:19]
; %bb.265:                              ;   in Loop: Header=BB10_257 Depth=2
	s_or_b64 exec, exec, s[48:49]
	v_mov_b32_e32 v3, v11
	v_lshlrev_b32_e32 v2, 16, v3
	v_lshlrev_b32_e32 v4, 16, v15
	v_pk_mul_f32 v[10:11], v[2:3], v[4:5] op_sel_hi:[0,1]
	v_and_b32_e32 v2, 0x7f800000, v10
	v_cmp_ne_u32_e64 s[18:19], s65, v2
                                        ; implicit-def: $vgpr29
	s_and_saveexec_b64 s[48:49], s[18:19]
	s_xor_b64 s[18:19], exec, s[48:49]
; %bb.266:                              ;   in Loop: Header=BB10_257 Depth=2
	v_bfe_u32 v2, v10, 16, 1
	v_add3_u32 v29, v10, v2, s66
                                        ; implicit-def: $vgpr10_vgpr11
; %bb.267:                              ;   in Loop: Header=BB10_257 Depth=2
	s_andn2_saveexec_b64 s[48:49], s[18:19]
; %bb.268:                              ;   in Loop: Header=BB10_257 Depth=2
	v_or_b32_e32 v2, 0x10000, v10
	v_cmp_eq_u32_sdwa s[18:19], v10, v55 src0_sel:WORD_0 src1_sel:DWORD
	s_nop 1
	v_cndmask_b32_e64 v29, v2, v10, s[18:19]
; %bb.269:                              ;   in Loop: Header=BB10_257 Depth=2
	s_or_b64 exec, exec, s[48:49]
	v_and_b32_e32 v2, 0xffff0000, v3
	v_and_b32_e32 v4, 0xffff0000, v15
	v_pk_mul_f32 v[2:3], v[2:3], v[4:5] op_sel_hi:[0,1]
	v_and_b32_e32 v3, 0x7f800000, v2
	v_cmp_ne_u32_e64 s[18:19], s65, v3
                                        ; implicit-def: $vgpr15
	s_and_saveexec_b64 s[48:49], s[18:19]
	s_xor_b64 s[18:19], exec, s[48:49]
; %bb.270:                              ;   in Loop: Header=BB10_257 Depth=2
	v_bfe_u32 v3, v2, 16, 1
	v_add3_u32 v15, v2, v3, s66
                                        ; implicit-def: $vgpr2_vgpr3
; %bb.271:                              ;   in Loop: Header=BB10_257 Depth=2
	s_andn2_saveexec_b64 s[48:49], s[18:19]
; %bb.272:                              ;   in Loop: Header=BB10_257 Depth=2
	v_or_b32_e32 v3, 0x10000, v2
	v_cmp_eq_u32_sdwa s[18:19], v2, v55 src0_sel:WORD_0 src1_sel:DWORD
	s_nop 1
	v_cndmask_b32_e64 v15, v3, v2, s[18:19]
; %bb.273:                              ;   in Loop: Header=BB10_257 Depth=2
	s_or_b64 exec, exec, s[48:49]
	v_lshlrev_b32_e32 v2, 16, v12
	v_lshlrev_b32_e32 v4, 16, v16
	v_pk_mul_f32 v[2:3], v[2:3], v[4:5] op_sel_hi:[0,1]
	v_and_b32_e32 v3, 0x7f800000, v2
	v_cmp_ne_u32_e64 s[18:19], s65, v3
                                        ; implicit-def: $vgpr30
	s_and_saveexec_b64 s[48:49], s[18:19]
	s_xor_b64 s[18:19], exec, s[48:49]
; %bb.274:                              ;   in Loop: Header=BB10_257 Depth=2
	v_bfe_u32 v3, v2, 16, 1
	v_add3_u32 v30, v2, v3, s66
                                        ; implicit-def: $vgpr2_vgpr3
; %bb.275:                              ;   in Loop: Header=BB10_257 Depth=2
	s_andn2_saveexec_b64 s[48:49], s[18:19]
; %bb.276:                              ;   in Loop: Header=BB10_257 Depth=2
	v_or_b32_e32 v3, 0x10000, v2
	v_cmp_eq_u32_sdwa s[18:19], v2, v55 src0_sel:WORD_0 src1_sel:DWORD
	s_nop 1
	v_cndmask_b32_e64 v30, v3, v2, s[18:19]
; %bb.277:                              ;   in Loop: Header=BB10_257 Depth=2
	s_or_b64 exec, exec, s[48:49]
	v_and_b32_e32 v2, 0xffff0000, v12
	v_and_b32_e32 v4, 0xffff0000, v16
	v_pk_mul_f32 v[2:3], v[2:3], v[4:5] op_sel_hi:[0,1]
	v_and_b32_e32 v3, 0x7f800000, v2
	v_cmp_ne_u32_e64 s[18:19], s65, v3
                                        ; implicit-def: $vgpr12
	s_and_saveexec_b64 s[48:49], s[18:19]
	s_xor_b64 s[18:19], exec, s[48:49]
; %bb.278:                              ;   in Loop: Header=BB10_257 Depth=2
	v_bfe_u32 v3, v2, 16, 1
	v_add3_u32 v12, v2, v3, s66
                                        ; implicit-def: $vgpr2_vgpr3
; %bb.279:                              ;   in Loop: Header=BB10_257 Depth=2
	s_andn2_saveexec_b64 s[48:49], s[18:19]
; %bb.280:                              ;   in Loop: Header=BB10_257 Depth=2
	v_or_b32_e32 v3, 0x10000, v2
	v_cmp_eq_u32_sdwa s[18:19], v2, v55 src0_sel:WORD_0 src1_sel:DWORD
	s_nop 1
	v_cndmask_b32_e64 v12, v3, v2, s[18:19]
; %bb.281:                              ;   in Loop: Header=BB10_257 Depth=2
	s_or_b64 exec, exec, s[48:49]
	v_mov_b32_e32 v3, v17
	v_lshlrev_b32_e32 v2, 16, v13
	v_lshlrev_b32_e32 v4, 16, v3
	v_pk_mul_f32 v[10:11], v[2:3], v[4:5] op_sel_hi:[0,1]
	v_and_b32_e32 v2, 0x7f800000, v10
	v_cmp_ne_u32_e64 s[18:19], s65, v2
                                        ; implicit-def: $vgpr16
	s_and_saveexec_b64 s[48:49], s[18:19]
	s_xor_b64 s[18:19], exec, s[48:49]
; %bb.282:                              ;   in Loop: Header=BB10_257 Depth=2
	v_bfe_u32 v2, v10, 16, 1
	v_add3_u32 v16, v10, v2, s66
                                        ; implicit-def: $vgpr10_vgpr11
; %bb.283:                              ;   in Loop: Header=BB10_257 Depth=2
	s_andn2_saveexec_b64 s[48:49], s[18:19]
; %bb.284:                              ;   in Loop: Header=BB10_257 Depth=2
	v_or_b32_e32 v2, 0x10000, v10
	v_cmp_eq_u32_sdwa s[18:19], v10, v55 src0_sel:WORD_0 src1_sel:DWORD
	s_nop 1
	v_cndmask_b32_e64 v16, v2, v10, s[18:19]
; %bb.285:                              ;   in Loop: Header=BB10_257 Depth=2
	s_or_b64 exec, exec, s[48:49]
	v_and_b32_e32 v2, 0xffff0000, v13
	v_and_b32_e32 v4, 0xffff0000, v3
	v_pk_mul_f32 v[2:3], v[2:3], v[4:5] op_sel_hi:[0,1]
	v_and_b32_e32 v3, 0x7f800000, v2
	v_cmp_ne_u32_e64 s[18:19], s65, v3
                                        ; implicit-def: $vgpr10
	s_and_saveexec_b64 s[48:49], s[18:19]
	s_xor_b64 s[18:19], exec, s[48:49]
; %bb.286:                              ;   in Loop: Header=BB10_257 Depth=2
	v_bfe_u32 v3, v2, 16, 1
	v_add3_u32 v10, v2, v3, s66
                                        ; implicit-def: $vgpr2_vgpr3
; %bb.287:                              ;   in Loop: Header=BB10_257 Depth=2
	s_andn2_saveexec_b64 s[48:49], s[18:19]
	s_cbranch_execz .LBB10_256
; %bb.288:                              ;   in Loop: Header=BB10_257 Depth=2
	v_or_b32_e32 v3, 0x10000, v2
	v_cmp_eq_u32_sdwa s[18:19], v2, v55 src0_sel:WORD_0 src1_sel:DWORD
	s_nop 1
	v_cndmask_b32_e64 v10, v3, v2, s[18:19]
	s_branch .LBB10_256
.LBB10_289:                             ;   in Loop: Header=BB10_49 Depth=1
	s_or_b64 exec, exec, s[46:47]
.LBB10_290:                             ;   in Loop: Header=BB10_49 Depth=1
	s_or_b64 exec, exec, s[44:45]
	v_and_b32_e32 v1, 14, v48
	v_cndmask_b32_e32 v48, v26, v1, vcc
	v_cmp_ne_u32_e64 s[18:19], 0, v48
	s_mov_b64 s[44:45], 0
	v_mov_b32_e32 v14, 0
                                        ; implicit-def: $vgpr15
                                        ; implicit-def: $vgpr0
	s_and_saveexec_b64 s[46:47], s[18:19]
	s_cbranch_execz .LBB10_292
; %bb.291:                              ;   in Loop: Header=BB10_49 Depth=1
	v_sub_u32_e32 v0, v26, v1
	v_cndmask_b32_e32 v0, 0, v0, vcc
	v_add3_u32 v14, v24, v22, v0
	v_cmp_lt_i32_e32 vcc, 0, v25
	v_accvgpr_read_b32 v0, a22
	s_mov_b64 s[44:45], exec
	v_cndmask_b32_e32 v0, 0, v0, vcc
	v_sub_u32_e32 v0, v0, v25
	v_lshl_add_u32 v15, v0, 6, v23
	v_ashrrev_i32_e32 v0, 31, v15
	v_lshrrev_b32_e32 v0, 26, v0
	v_add_u32_e32 v0, v15, v0
	v_ashrrev_i32_e32 v0, 6, v0
	v_accvgpr_read_b32 v1, a23
.LBB10_292:                             ;   in Loop: Header=BB10_49 Depth=1
	s_or_b64 exec, exec, s[46:47]
	s_and_b64 s[44:45], s[44:45], exec
.LBB10_293:                             ;   in Loop: Header=BB10_49 Depth=1
	s_or_b64 exec, exec, s[42:43]
	s_and_saveexec_b64 s[18:19], s[44:45]
	s_cbranch_execz .LBB10_370
.LBB10_294:                             ;   in Loop: Header=BB10_49 Depth=1
	v_ashrrev_i32_e32 v1, 31, v48
	v_lshrrev_b32_e32 v1, 21, v1
	v_add_u32_e32 v1, v48, v1
	v_ashrrev_i32_e32 v18, 11, v1
	v_sub_u32_e32 v16, v18, v0
	v_ashrrev_i32_e32 v1, 31, v15
	v_cmp_lt_i32_e32 vcc, 0, v16
	v_lshrrev_b32_e32 v17, 26, v1
	s_and_saveexec_b64 s[42:43], vcc
	s_cbranch_execz .LBB10_362
; %bb.295:                              ;   in Loop: Header=BB10_49 Depth=1
	s_trap 2
	v_add_u32_e32 v1, v15, v17
	ds_read_b128 v[2:5], v0
	v_lshlrev_b32_e32 v0, 11, v0
	v_and_b32_e32 v1, 0x7fffffc0, v1
	ds_read_b64 v[6:7], v0
	v_sub_u32_e32 v1, v15, v1
	v_lshlrev_b32_e32 v1, 1, v1
	v_add3_u32 v8, v1, v14, v0
	v_ashrrev_i32_e32 v9, 31, v8
	v_accvgpr_write_b32 a4, v32
	s_waitcnt lgkmcnt(0)
	v_lshl_add_u64 v[0:1], v[2:3], 0, v[8:9]
	v_lshl_add_u64 v[2:3], v[6:7], 0, s[36:37]
	v_accvgpr_write_b32 a39, v48
	v_accvgpr_write_b32 a35, v39
	;; [unrolled: 1-line block ×4, first 2 shown]
	v_lshl_add_u64 v[10:11], v[4:5], 0, v[8:9]
	v_lshl_add_u64 v[12:13], v[2:3], 0, v[8:9]
	s_mov_b64 s[44:45], 0
	s_branch .LBB10_297
.LBB10_296:                             ;   in Loop: Header=BB10_297 Depth=2
	s_or_b64 exec, exec, s[46:47]
	v_add_co_u32_e32 v2, vcc, 0xfffff880, v12
	v_lshl_add_u64 v[0:1], v[0:1], 0, v[52:53]
	s_nop 0
	v_addc_co_u32_e32 v3, vcc, -1, v13, vcc
	flat_store_short_d16_hi v[2:3], v20 nt
	v_add_co_u32_e32 v2, vcc, 0xfffff900, v12
	v_lshl_add_u64 v[10:11], v[10:11], 0, v[52:53]
	s_nop 0
	v_addc_co_u32_e32 v3, vcc, -1, v13, vcc
	flat_store_short_d16_hi v[2:3], v22 nt
	v_add_co_u32_e32 v2, vcc, 0xfffff980, v12
	s_nop 1
	v_addc_co_u32_e32 v3, vcc, -1, v13, vcc
	flat_store_short_d16_hi v[2:3], v24 nt
	v_add_co_u32_e32 v2, vcc, 0xfffffa00, v12
	;; [unrolled: 4-line block ×13, first 2 shown]
	s_nop 1
	v_addc_co_u32_e32 v3, vcc, -1, v13, vcc
	flat_store_short_d16_hi v[2:3], v23 nt
	flat_store_short_d16_hi v[12:13], v19 nt
	v_accvgpr_read_b32 v2, a22
	v_sub_u32_e32 v16, v16, v2
	v_cmp_gt_i32_e32 vcc, 1, v16
	s_or_b64 s[44:45], vcc, s[44:45]
	v_lshl_add_u64 v[12:13], v[12:13], 0, v[52:53]
	v_accvgpr_read_b32 v3, a23
	s_andn2_b64 exec, exec, s[44:45]
	s_cbranch_execz .LBB10_361
.LBB10_297:                             ;   Parent Loop BB10_49 Depth=1
                                        ; =>  This Inner Loop Header: Depth=2
	flat_load_ushort v24, v[0:1] offset:256 nt
	flat_load_ushort v27, v[0:1] offset:384 nt
	;; [unrolled: 1-line block ×21, first 2 shown]
	flat_load_ushort v3, v[0:1] nt
	flat_load_ushort v60, v[10:11] offset:128 nt
	flat_load_ushort v2, v[10:11] nt
	flat_load_ushort v50, v[10:11] offset:1024 nt
	flat_load_ushort v49, v[10:11] offset:1152 nt
	;; [unrolled: 1-line block ×8, first 2 shown]
                                        ; implicit-def: $vgpr20
	s_waitcnt vmcnt(0) lgkmcnt(0)
	v_lshlrev_b32_e32 v4, 16, v3
	v_lshlrev_b32_e32 v2, 16, v2
	v_pk_mul_f32 v[2:3], v[2:3], v[4:5] op_sel_hi:[0,1]
	v_and_b32_e32 v3, 0x7f800000, v2
	v_cmp_ne_u32_e32 vcc, s65, v3
	s_and_saveexec_b64 s[46:47], vcc
	s_xor_b64 vcc, exec, s[46:47]
; %bb.298:                              ;   in Loop: Header=BB10_297 Depth=2
	v_bfe_u32 v3, v2, 16, 1
	v_add3_u32 v20, v2, v3, s66
                                        ; implicit-def: $vgpr2_vgpr3
; %bb.299:                              ;   in Loop: Header=BB10_297 Depth=2
	s_andn2_saveexec_b64 s[46:47], vcc
; %bb.300:                              ;   in Loop: Header=BB10_297 Depth=2
	v_or_b32_e32 v3, 0x10000, v2
	v_cmp_eq_u32_sdwa vcc, v2, v55 src0_sel:WORD_0 src1_sel:DWORD
	s_nop 1
	v_cndmask_b32_e32 v20, v3, v2, vcc
; %bb.301:                              ;   in Loop: Header=BB10_297 Depth=2
	s_or_b64 exec, exec, s[46:47]
	v_lshlrev_b32_e32 v2, 16, v60
	v_lshlrev_b32_e32 v4, 16, v22
	v_pk_mul_f32 v[2:3], v[2:3], v[4:5] op_sel_hi:[0,1]
	v_and_b32_e32 v3, 0x7f800000, v2
	v_cmp_ne_u32_e32 vcc, s65, v3
                                        ; implicit-def: $vgpr22
	s_and_saveexec_b64 s[46:47], vcc
	s_xor_b64 vcc, exec, s[46:47]
; %bb.302:                              ;   in Loop: Header=BB10_297 Depth=2
	v_bfe_u32 v3, v2, 16, 1
	v_add3_u32 v22, v2, v3, s66
                                        ; implicit-def: $vgpr2_vgpr3
; %bb.303:                              ;   in Loop: Header=BB10_297 Depth=2
	s_andn2_saveexec_b64 s[46:47], vcc
; %bb.304:                              ;   in Loop: Header=BB10_297 Depth=2
	v_or_b32_e32 v3, 0x10000, v2
	v_cmp_eq_u32_sdwa vcc, v2, v55 src0_sel:WORD_0 src1_sel:DWORD
	s_nop 1
	v_cndmask_b32_e32 v22, v3, v2, vcc
; %bb.305:                              ;   in Loop: Header=BB10_297 Depth=2
	s_or_b64 exec, exec, s[46:47]
	v_lshlrev_b32_e32 v2, 16, v45
	v_lshlrev_b32_e32 v4, 16, v24
	v_pk_mul_f32 v[2:3], v[2:3], v[4:5] op_sel_hi:[0,1]
	v_and_b32_e32 v3, 0x7f800000, v2
	v_cmp_ne_u32_e32 vcc, s65, v3
                                        ; implicit-def: $vgpr24
	s_and_saveexec_b64 s[46:47], vcc
	s_xor_b64 vcc, exec, s[46:47]
; %bb.306:                              ;   in Loop: Header=BB10_297 Depth=2
	v_bfe_u32 v3, v2, 16, 1
	v_add3_u32 v24, v2, v3, s66
                                        ; implicit-def: $vgpr2_vgpr3
; %bb.307:                              ;   in Loop: Header=BB10_297 Depth=2
	s_andn2_saveexec_b64 s[46:47], vcc
; %bb.308:                              ;   in Loop: Header=BB10_297 Depth=2
	v_or_b32_e32 v3, 0x10000, v2
	v_cmp_eq_u32_sdwa vcc, v2, v55 src0_sel:WORD_0 src1_sel:DWORD
	s_nop 1
	v_cndmask_b32_e32 v24, v3, v2, vcc
; %bb.309:                              ;   in Loop: Header=BB10_297 Depth=2
	s_or_b64 exec, exec, s[46:47]
	v_lshlrev_b32_e32 v2, 16, v44
	v_lshlrev_b32_e32 v4, 16, v27
	v_pk_mul_f32 v[2:3], v[2:3], v[4:5] op_sel_hi:[0,1]
	v_and_b32_e32 v3, 0x7f800000, v2
	v_cmp_ne_u32_e32 vcc, s65, v3
                                        ; implicit-def: $vgpr27
	s_and_saveexec_b64 s[46:47], vcc
	s_xor_b64 vcc, exec, s[46:47]
; %bb.310:                              ;   in Loop: Header=BB10_297 Depth=2
	v_bfe_u32 v3, v2, 16, 1
	v_add3_u32 v27, v2, v3, s66
                                        ; implicit-def: $vgpr2_vgpr3
; %bb.311:                              ;   in Loop: Header=BB10_297 Depth=2
	s_andn2_saveexec_b64 s[46:47], vcc
; %bb.312:                              ;   in Loop: Header=BB10_297 Depth=2
	v_or_b32_e32 v3, 0x10000, v2
	v_cmp_eq_u32_sdwa vcc, v2, v55 src0_sel:WORD_0 src1_sel:DWORD
	s_nop 1
	v_cndmask_b32_e32 v27, v3, v2, vcc
; %bb.313:                              ;   in Loop: Header=BB10_297 Depth=2
	s_or_b64 exec, exec, s[46:47]
	v_lshlrev_b32_e32 v2, 16, v41
	v_lshlrev_b32_e32 v4, 16, v30
	v_pk_mul_f32 v[2:3], v[2:3], v[4:5] op_sel_hi:[0,1]
	v_and_b32_e32 v3, 0x7f800000, v2
	v_cmp_ne_u32_e32 vcc, s65, v3
                                        ; implicit-def: $vgpr30
	s_and_saveexec_b64 s[46:47], vcc
	s_xor_b64 vcc, exec, s[46:47]
; %bb.314:                              ;   in Loop: Header=BB10_297 Depth=2
	v_bfe_u32 v3, v2, 16, 1
	v_add3_u32 v30, v2, v3, s66
                                        ; implicit-def: $vgpr2_vgpr3
; %bb.315:                              ;   in Loop: Header=BB10_297 Depth=2
	s_andn2_saveexec_b64 s[46:47], vcc
; %bb.316:                              ;   in Loop: Header=BB10_297 Depth=2
	v_or_b32_e32 v3, 0x10000, v2
	v_cmp_eq_u32_sdwa vcc, v2, v55 src0_sel:WORD_0 src1_sel:DWORD
	s_nop 1
	v_cndmask_b32_e32 v30, v3, v2, vcc
; %bb.317:                              ;   in Loop: Header=BB10_297 Depth=2
	s_or_b64 exec, exec, s[46:47]
	v_lshlrev_b32_e32 v2, 16, v40
	v_lshlrev_b32_e32 v4, 16, v33
	v_pk_mul_f32 v[2:3], v[2:3], v[4:5] op_sel_hi:[0,1]
	v_and_b32_e32 v3, 0x7f800000, v2
	v_cmp_ne_u32_e32 vcc, s65, v3
                                        ; implicit-def: $vgpr33
	s_and_saveexec_b64 s[46:47], vcc
	s_xor_b64 vcc, exec, s[46:47]
; %bb.318:                              ;   in Loop: Header=BB10_297 Depth=2
	v_bfe_u32 v3, v2, 16, 1
	v_add3_u32 v33, v2, v3, s66
                                        ; implicit-def: $vgpr2_vgpr3
; %bb.319:                              ;   in Loop: Header=BB10_297 Depth=2
	s_andn2_saveexec_b64 s[46:47], vcc
; %bb.320:                              ;   in Loop: Header=BB10_297 Depth=2
	v_or_b32_e32 v3, 0x10000, v2
	v_cmp_eq_u32_sdwa vcc, v2, v55 src0_sel:WORD_0 src1_sel:DWORD
	s_nop 1
	v_cndmask_b32_e32 v33, v3, v2, vcc
; %bb.321:                              ;   in Loop: Header=BB10_297 Depth=2
	s_or_b64 exec, exec, s[46:47]
	v_lshlrev_b32_e32 v2, 16, v54
	v_lshlrev_b32_e32 v4, 16, v36
	v_pk_mul_f32 v[2:3], v[2:3], v[4:5] op_sel_hi:[0,1]
	v_and_b32_e32 v3, 0x7f800000, v2
	v_cmp_ne_u32_e32 vcc, s65, v3
                                        ; implicit-def: $vgpr36
	s_and_saveexec_b64 s[46:47], vcc
	s_xor_b64 vcc, exec, s[46:47]
; %bb.322:                              ;   in Loop: Header=BB10_297 Depth=2
	v_bfe_u32 v3, v2, 16, 1
	v_add3_u32 v36, v2, v3, s66
                                        ; implicit-def: $vgpr2_vgpr3
; %bb.323:                              ;   in Loop: Header=BB10_297 Depth=2
	s_andn2_saveexec_b64 s[46:47], vcc
; %bb.324:                              ;   in Loop: Header=BB10_297 Depth=2
	v_or_b32_e32 v3, 0x10000, v2
	v_cmp_eq_u32_sdwa vcc, v2, v55 src0_sel:WORD_0 src1_sel:DWORD
	s_nop 1
	v_cndmask_b32_e32 v36, v3, v2, vcc
; %bb.325:                              ;   in Loop: Header=BB10_297 Depth=2
	s_or_b64 exec, exec, s[46:47]
	v_lshlrev_b32_e32 v2, 16, v51
	v_lshlrev_b32_e32 v4, 16, v38
	v_pk_mul_f32 v[2:3], v[2:3], v[4:5] op_sel_hi:[0,1]
	v_and_b32_e32 v3, 0x7f800000, v2
	v_cmp_ne_u32_e32 vcc, s65, v3
                                        ; implicit-def: $vgpr38
	s_and_saveexec_b64 s[46:47], vcc
	s_xor_b64 vcc, exec, s[46:47]
; %bb.326:                              ;   in Loop: Header=BB10_297 Depth=2
	v_bfe_u32 v3, v2, 16, 1
	v_add3_u32 v38, v2, v3, s66
                                        ; implicit-def: $vgpr2_vgpr3
; %bb.327:                              ;   in Loop: Header=BB10_297 Depth=2
	s_andn2_saveexec_b64 s[46:47], vcc
; %bb.328:                              ;   in Loop: Header=BB10_297 Depth=2
	v_or_b32_e32 v3, 0x10000, v2
	v_cmp_eq_u32_sdwa vcc, v2, v55 src0_sel:WORD_0 src1_sel:DWORD
	s_nop 1
	v_cndmask_b32_e32 v38, v3, v2, vcc
; %bb.329:                              ;   in Loop: Header=BB10_297 Depth=2
	s_or_b64 exec, exec, s[46:47]
	v_lshlrev_b32_e32 v2, 16, v50
	v_lshlrev_b32_e32 v4, 16, v48
	v_pk_mul_f32 v[2:3], v[2:3], v[4:5] op_sel_hi:[0,1]
	v_and_b32_e32 v3, 0x7f800000, v2
	v_cmp_ne_u32_e32 vcc, s65, v3
                                        ; implicit-def: $vgpr48
	s_and_saveexec_b64 s[46:47], vcc
	s_xor_b64 vcc, exec, s[46:47]
; %bb.330:                              ;   in Loop: Header=BB10_297 Depth=2
	v_bfe_u32 v3, v2, 16, 1
	v_add3_u32 v48, v2, v3, s66
                                        ; implicit-def: $vgpr2_vgpr3
; %bb.331:                              ;   in Loop: Header=BB10_297 Depth=2
	s_andn2_saveexec_b64 s[46:47], vcc
; %bb.332:                              ;   in Loop: Header=BB10_297 Depth=2
	v_or_b32_e32 v3, 0x10000, v2
	v_cmp_eq_u32_sdwa vcc, v2, v55 src0_sel:WORD_0 src1_sel:DWORD
	s_nop 1
	v_cndmask_b32_e32 v48, v3, v2, vcc
; %bb.333:                              ;   in Loop: Header=BB10_297 Depth=2
	s_or_b64 exec, exec, s[46:47]
	v_lshlrev_b32_e32 v2, 16, v49
	v_lshlrev_b32_e32 v4, 16, v39
	v_pk_mul_f32 v[2:3], v[2:3], v[4:5] op_sel_hi:[0,1]
	v_and_b32_e32 v3, 0x7f800000, v2
	v_cmp_ne_u32_e32 vcc, s65, v3
                                        ; implicit-def: $vgpr39
	s_and_saveexec_b64 s[46:47], vcc
	s_xor_b64 vcc, exec, s[46:47]
; %bb.334:                              ;   in Loop: Header=BB10_297 Depth=2
	v_bfe_u32 v3, v2, 16, 1
	v_add3_u32 v39, v2, v3, s66
                                        ; implicit-def: $vgpr2_vgpr3
; %bb.335:                              ;   in Loop: Header=BB10_297 Depth=2
	s_andn2_saveexec_b64 s[46:47], vcc
; %bb.336:                              ;   in Loop: Header=BB10_297 Depth=2
	v_or_b32_e32 v3, 0x10000, v2
	v_cmp_eq_u32_sdwa vcc, v2, v55 src0_sel:WORD_0 src1_sel:DWORD
	s_nop 1
	v_cndmask_b32_e32 v39, v3, v2, vcc
; %bb.337:                              ;   in Loop: Header=BB10_297 Depth=2
	s_or_b64 exec, exec, s[46:47]
	v_lshlrev_b32_e32 v2, 16, v37
	v_lshlrev_b32_e32 v4, 16, v35
	v_pk_mul_f32 v[2:3], v[2:3], v[4:5] op_sel_hi:[0,1]
	v_and_b32_e32 v3, 0x7f800000, v2
	v_cmp_ne_u32_e32 vcc, s65, v3
                                        ; implicit-def: $vgpr35
	s_and_saveexec_b64 s[46:47], vcc
	s_xor_b64 vcc, exec, s[46:47]
; %bb.338:                              ;   in Loop: Header=BB10_297 Depth=2
	v_bfe_u32 v3, v2, 16, 1
	v_add3_u32 v35, v2, v3, s66
                                        ; implicit-def: $vgpr2_vgpr3
; %bb.339:                              ;   in Loop: Header=BB10_297 Depth=2
	s_andn2_saveexec_b64 s[46:47], vcc
; %bb.340:                              ;   in Loop: Header=BB10_297 Depth=2
	v_or_b32_e32 v3, 0x10000, v2
	v_cmp_eq_u32_sdwa vcc, v2, v55 src0_sel:WORD_0 src1_sel:DWORD
	s_nop 1
	v_cndmask_b32_e32 v35, v3, v2, vcc
; %bb.341:                              ;   in Loop: Header=BB10_297 Depth=2
	s_or_b64 exec, exec, s[46:47]
	v_lshlrev_b32_e32 v2, 16, v34
	v_lshlrev_b32_e32 v4, 16, v32
	v_pk_mul_f32 v[2:3], v[2:3], v[4:5] op_sel_hi:[0,1]
	v_and_b32_e32 v3, 0x7f800000, v2
	v_cmp_ne_u32_e32 vcc, s65, v3
                                        ; implicit-def: $vgpr32
	s_and_saveexec_b64 s[46:47], vcc
	s_xor_b64 vcc, exec, s[46:47]
; %bb.342:                              ;   in Loop: Header=BB10_297 Depth=2
	v_bfe_u32 v3, v2, 16, 1
	v_add3_u32 v32, v2, v3, s66
                                        ; implicit-def: $vgpr2_vgpr3
; %bb.343:                              ;   in Loop: Header=BB10_297 Depth=2
	s_andn2_saveexec_b64 s[46:47], vcc
; %bb.344:                              ;   in Loop: Header=BB10_297 Depth=2
	v_or_b32_e32 v3, 0x10000, v2
	v_cmp_eq_u32_sdwa vcc, v2, v55 src0_sel:WORD_0 src1_sel:DWORD
	s_nop 1
	v_cndmask_b32_e32 v32, v3, v2, vcc
; %bb.345:                              ;   in Loop: Header=BB10_297 Depth=2
	s_or_b64 exec, exec, s[46:47]
	v_lshlrev_b32_e32 v2, 16, v5
	v_lshlrev_b32_e32 v4, 16, v29
	v_pk_mul_f32 v[2:3], v[2:3], v[4:5] op_sel_hi:[0,1]
	v_and_b32_e32 v3, 0x7f800000, v2
	v_cmp_ne_u32_e32 vcc, s65, v3
                                        ; implicit-def: $vgpr29
	s_and_saveexec_b64 s[46:47], vcc
	s_xor_b64 vcc, exec, s[46:47]
; %bb.346:                              ;   in Loop: Header=BB10_297 Depth=2
	v_bfe_u32 v3, v2, 16, 1
	v_add3_u32 v29, v2, v3, s66
                                        ; implicit-def: $vgpr2_vgpr3
; %bb.347:                              ;   in Loop: Header=BB10_297 Depth=2
	s_andn2_saveexec_b64 s[46:47], vcc
; %bb.348:                              ;   in Loop: Header=BB10_297 Depth=2
	v_or_b32_e32 v3, 0x10000, v2
	v_cmp_eq_u32_sdwa vcc, v2, v55 src0_sel:WORD_0 src1_sel:DWORD
	s_nop 1
	v_cndmask_b32_e32 v29, v3, v2, vcc
; %bb.349:                              ;   in Loop: Header=BB10_297 Depth=2
	s_or_b64 exec, exec, s[46:47]
	v_lshlrev_b32_e32 v2, 16, v28
	v_lshlrev_b32_e32 v4, 16, v26
	v_pk_mul_f32 v[2:3], v[2:3], v[4:5] op_sel_hi:[0,1]
	v_and_b32_e32 v3, 0x7f800000, v2
	v_cmp_ne_u32_e32 vcc, s65, v3
                                        ; implicit-def: $vgpr26
	s_and_saveexec_b64 s[46:47], vcc
	s_xor_b64 vcc, exec, s[46:47]
; %bb.350:                              ;   in Loop: Header=BB10_297 Depth=2
	v_bfe_u32 v3, v2, 16, 1
	v_add3_u32 v26, v2, v3, s66
                                        ; implicit-def: $vgpr2_vgpr3
; %bb.351:                              ;   in Loop: Header=BB10_297 Depth=2
	s_andn2_saveexec_b64 s[46:47], vcc
; %bb.352:                              ;   in Loop: Header=BB10_297 Depth=2
	v_or_b32_e32 v3, 0x10000, v2
	v_cmp_eq_u32_sdwa vcc, v2, v55 src0_sel:WORD_0 src1_sel:DWORD
	s_nop 1
	v_cndmask_b32_e32 v26, v3, v2, vcc
; %bb.353:                              ;   in Loop: Header=BB10_297 Depth=2
	s_or_b64 exec, exec, s[46:47]
	v_lshlrev_b32_e32 v2, 16, v25
	v_lshlrev_b32_e32 v4, 16, v23
	v_pk_mul_f32 v[2:3], v[2:3], v[4:5] op_sel_hi:[0,1]
	v_and_b32_e32 v3, 0x7f800000, v2
	v_cmp_ne_u32_e32 vcc, s65, v3
                                        ; implicit-def: $vgpr23
	s_and_saveexec_b64 s[46:47], vcc
	s_xor_b64 vcc, exec, s[46:47]
; %bb.354:                              ;   in Loop: Header=BB10_297 Depth=2
	v_bfe_u32 v3, v2, 16, 1
	v_add3_u32 v23, v2, v3, s66
                                        ; implicit-def: $vgpr2_vgpr3
; %bb.355:                              ;   in Loop: Header=BB10_297 Depth=2
	s_andn2_saveexec_b64 s[46:47], vcc
; %bb.356:                              ;   in Loop: Header=BB10_297 Depth=2
	v_or_b32_e32 v3, 0x10000, v2
	v_cmp_eq_u32_sdwa vcc, v2, v55 src0_sel:WORD_0 src1_sel:DWORD
	s_nop 1
	v_cndmask_b32_e32 v23, v3, v2, vcc
; %bb.357:                              ;   in Loop: Header=BB10_297 Depth=2
	s_or_b64 exec, exec, s[46:47]
	v_lshlrev_b32_e32 v2, 16, v21
	v_lshlrev_b32_e32 v4, 16, v19
	v_pk_mul_f32 v[2:3], v[2:3], v[4:5] op_sel_hi:[0,1]
	v_and_b32_e32 v3, 0x7f800000, v2
	v_cmp_ne_u32_e32 vcc, s65, v3
                                        ; implicit-def: $vgpr19
	s_and_saveexec_b64 s[46:47], vcc
	s_xor_b64 vcc, exec, s[46:47]
; %bb.358:                              ;   in Loop: Header=BB10_297 Depth=2
	v_bfe_u32 v3, v2, 16, 1
	v_add3_u32 v19, v2, v3, s66
                                        ; implicit-def: $vgpr2_vgpr3
; %bb.359:                              ;   in Loop: Header=BB10_297 Depth=2
	s_andn2_saveexec_b64 s[46:47], vcc
	s_cbranch_execz .LBB10_296
; %bb.360:                              ;   in Loop: Header=BB10_297 Depth=2
	v_or_b32_e32 v3, 0x10000, v2
	v_cmp_eq_u32_sdwa vcc, v2, v55 src0_sel:WORD_0 src1_sel:DWORD
	s_nop 1
	v_cndmask_b32_e32 v19, v3, v2, vcc
	s_branch .LBB10_296
.LBB10_361:                             ;   in Loop: Header=BB10_49 Depth=1
	s_or_b64 exec, exec, s[44:45]
	v_accvgpr_read_b32 v41, a3
	v_accvgpr_read_b32 v33, a5
	;; [unrolled: 1-line block ×13, first 2 shown]
.LBB10_362:                             ;   in Loop: Header=BB10_49 Depth=1
	s_or_b64 exec, exec, s[42:43]
	v_lshlrev_b32_e32 v0, 11, v18
	v_cmp_ne_u32_e32 vcc, v48, v0
	s_and_b64 exec, exec, vcc
	s_cbranch_execz .LBB10_370
; %bb.363:                              ;   in Loop: Header=BB10_49 Depth=1
	v_add_u32_e32 v1, v15, v17
	v_and_b32_e32 v1, 0xffffffc0, v1
	v_sub_u32_e32 v1, v15, v1
	v_lshlrev_b32_e32 v2, 6, v16
	v_sub_u32_e32 v1, v1, v2
	v_ashrrev_i32_e32 v2, 31, v1
	v_lshrrev_b32_e32 v2, 26, v2
	v_add_u32_e32 v2, v1, v2
	v_and_b32_e32 v3, 0x7fffffc0, v2
	v_sub_u32_e32 v1, v1, v3
	v_lshlrev_b32_e32 v2, 1, v2
	v_and_b32_e32 v2, 0xffffff80, v2
	v_lshlrev_b32_e32 v1, 1, v1
	v_add3_u32 v0, v2, v1, v0
	v_sub_u32_e32 v15, v48, v0
	v_cmp_lt_i32_e32 vcc, 1, v15
	s_and_b64 exec, exec, vcc
	s_cbranch_execz .LBB10_370
; %bb.364:                              ;   in Loop: Header=BB10_49 Depth=1
	s_trap 2
	ds_read_b128 v[2:5], v0
	ds_read_b64 v[6:7], v0
	v_add_u32_e32 v8, v0, v14
	v_ashrrev_i32_e32 v9, 31, v8
	s_mov_b64 s[42:43], 0
	s_waitcnt lgkmcnt(0)
	v_lshl_add_u64 v[0:1], v[2:3], 0, v[8:9]
	v_lshl_add_u64 v[10:11], v[4:5], 0, v[8:9]
	v_lshl_add_u64 v[12:13], v[6:7], 0, v[8:9]
	s_branch .LBB10_366
.LBB10_365:                             ;   in Loop: Header=BB10_366 Depth=2
	s_or_b64 exec, exec, s[44:45]
	v_accvgpr_read_b32 v2, a36
	v_sub_u32_e32 v15, v15, v37
	v_accvgpr_read_b32 v3, a37
	v_cmp_gt_i32_e32 vcc, 2, v15
	flat_store_short_d16_hi v[12:13], v14 nt
	v_lshl_add_u64 v[0:1], v[0:1], 0, v[2:3]
	v_lshl_add_u64 v[10:11], v[10:11], 0, v[2:3]
	s_or_b64 s[42:43], vcc, s[42:43]
	v_lshl_add_u64 v[12:13], v[12:13], 0, v[2:3]
	s_andn2_b64 exec, exec, s[42:43]
	s_cbranch_execz .LBB10_370
.LBB10_366:                             ;   Parent Loop BB10_49 Depth=1
                                        ; =>  This Inner Loop Header: Depth=2
	flat_load_ushort v2, v[10:11] nt
	flat_load_ushort v3, v[0:1] nt
                                        ; implicit-def: $vgpr14
	s_waitcnt vmcnt(0) lgkmcnt(0)
	v_lshlrev_b32_e32 v2, 16, v2
	v_lshlrev_b32_e32 v4, 16, v3
	v_pk_mul_f32 v[2:3], v[2:3], v[4:5] op_sel_hi:[0,1]
	v_and_b32_e32 v3, 0x7f800000, v2
	v_cmp_ne_u32_e32 vcc, s65, v3
	s_and_saveexec_b64 s[44:45], vcc
	s_xor_b64 vcc, exec, s[44:45]
; %bb.367:                              ;   in Loop: Header=BB10_366 Depth=2
	v_bfe_u32 v3, v2, 16, 1
	v_add3_u32 v14, v2, v3, s66
                                        ; implicit-def: $vgpr2_vgpr3
; %bb.368:                              ;   in Loop: Header=BB10_366 Depth=2
	s_andn2_saveexec_b64 s[44:45], vcc
	s_cbranch_execz .LBB10_365
; %bb.369:                              ;   in Loop: Header=BB10_366 Depth=2
	v_or_b32_e32 v3, 0x10000, v2
	v_cmp_eq_u32_sdwa vcc, v2, v55 src0_sel:WORD_0 src1_sel:DWORD
	s_nop 1
	v_cndmask_b32_e32 v14, v3, v2, vcc
	s_branch .LBB10_365
.LBB10_370:                             ;   in Loop: Header=BB10_49 Depth=1
	s_or_b64 exec, exec, s[18:19]
	v_cmp_ne_u32_e64 s[18:19], 0, v39
.LBB10_371:                             ;   in Loop: Header=BB10_49 Depth=1
	s_and_saveexec_b64 s[42:43], s[6:7]
	s_cbranch_execz .LBB10_390
; %bb.372:                              ;   in Loop: Header=BB10_49 Depth=1
	s_and_saveexec_b64 vcc, s[28:29]
	s_xor_b64 s[44:45], exec, vcc
	s_cbranch_execz .LBB10_387
; %bb.373:                              ;   in Loop: Header=BB10_49 Depth=1
	s_and_saveexec_b64 s[46:47], s[10:11]
	s_cbranch_execz .LBB10_386
; %bb.374:                              ;   in Loop: Header=BB10_49 Depth=1
	s_mov_b64 s[50:51], exec
	v_mbcnt_lo_u32_b32 v0, s50, 0
	v_mbcnt_hi_u32_b32 v0, s51, v0
	v_cmp_eq_u32_e32 vcc, 0, v0
	s_waitcnt lgkmcnt(0)
	s_and_saveexec_b64 s[48:49], vcc
	s_cbranch_execz .LBB10_376
; %bb.375:                              ;   in Loop: Header=BB10_49 Depth=1
	s_bcnt1_i32_b64 vcc_lo, s[50:51]
	v_mov_b32_e32 v54, vcc_lo
	ds_add_u64 v0, v[54:55]
	s_trap 2
.LBB10_376:                             ;   in Loop: Header=BB10_49 Depth=1
	s_or_b64 exec, exec, s[48:49]
	s_trap 2
	ds_read_b64 v[0:1], v0
	v_accvgpr_read_b32 v2, a20
	v_accvgpr_read_b32 v4, a22
	;; [unrolled: 1-line block ×4, first 2 shown]
	v_lshl_add_u64 v[2:3], v[2:3], 0, v[4:5]
	v_accvgpr_write_b32 a21, v3
	v_accvgpr_write_b32 a20, v2
	s_waitcnt lgkmcnt(0)
	v_cmp_lt_u64_e32 vcc, v[0:1], v[2:3]
	s_and_saveexec_b64 s[48:49], vcc
	s_cbranch_execz .LBB10_385
; %bb.377:                              ;   in Loop: Header=BB10_49 Depth=1
	s_mov_b32 s68, 0
	s_mov_b64 s[50:51], 0
                                        ; implicit-def: $sgpr52_sgpr53
                                        ; implicit-def: $sgpr54_sgpr55
	s_branch .LBB10_379
.LBB10_378:                             ;   in Loop: Header=BB10_379 Depth=2
	s_or_b64 exec, exec, s[58:59]
	s_and_b64 vcc, exec, vcc
	s_or_b64 s[50:51], vcc, s[50:51]
	s_andn2_b64 vcc, s[52:53], exec
	s_and_b64 s[52:53], s[54:55], exec
	s_or_b64 s[52:53], vcc, s[52:53]
	s_andn2_b64 exec, exec, s[50:51]
	s_cbranch_execz .LBB10_383
.LBB10_379:                             ;   Parent Loop BB10_49 Depth=1
                                        ; =>  This Inner Loop Header: Depth=2
	s_add_i32 s68, s68, 1
	s_cmpk_lg_i32 s68, 0x2710
	s_cselect_b64 s[56:57], -1, 0
	s_and_b64 vcc, exec, s[56:57]
                                        ; implicit-def: $sgpr58_sgpr59
	s_cbranch_vccnz .LBB10_381
; %bb.380:                              ;   in Loop: Header=BB10_379 Depth=2
	s_trap 2
	ds_read_b64 v[0:1], v0
	s_andn2_b64 s[56:57], s[56:57], exec
	s_mov_b32 s68, 0
	s_mov_b64 s[58:59], -1
	s_waitcnt vmcnt(0) lgkmcnt(0)
	flat_load_dword v0, v[0:1] sc0 sc1
	s_waitcnt vmcnt(0) lgkmcnt(0)
	buffer_inv sc0 sc1
	v_cmp_eq_u32_e32 vcc, 0, v0
	s_and_b64 vcc, vcc, exec
	s_or_b64 s[56:57], s[56:57], vcc
.LBB10_381:                             ;   in Loop: Header=BB10_379 Depth=2
	s_andn2_b64 s[54:55], s[54:55], exec
	s_and_b64 s[58:59], s[58:59], exec
	s_mov_b64 vcc, -1
	s_or_b64 s[54:55], s[54:55], s[58:59]
	s_and_saveexec_b64 s[58:59], s[56:57]
	s_cbranch_execz .LBB10_378
; %bb.382:                              ;   in Loop: Header=BB10_379 Depth=2
	s_sleep 1
	s_trap 2
	ds_read_b64 v[0:1], v0
	v_accvgpr_read_b32 v2, a20
	v_accvgpr_read_b32 v3, a21
	s_andn2_b64 s[54:55], s[54:55], exec
	s_waitcnt lgkmcnt(0)
	v_cmp_ge_u64_e32 vcc, v[0:1], v[2:3]
	s_orn2_b64 vcc, vcc, exec
	s_branch .LBB10_378
.LBB10_383:                             ;   in Loop: Header=BB10_49 Depth=1
	s_or_b64 exec, exec, s[50:51]
	s_and_saveexec_b64 vcc, s[52:53]
	s_xor_b64 vcc, exec, vcc
	s_cbranch_execz .LBB10_385
; %bb.384:                              ;   in Loop: Header=BB10_49 Depth=1
	v_mov_b32_e32 v0, 1
	ds_write_b32 v0, v0
	s_trap 2
.LBB10_385:                             ;   in Loop: Header=BB10_49 Depth=1
	s_or_b64 exec, exec, s[48:49]
	;;#ASMSTART
	s_wakeup
	;;#ASMEND
.LBB10_386:                             ;   in Loop: Header=BB10_49 Depth=1
	s_or_b64 exec, exec, s[46:47]
.LBB10_387:                             ;   in Loop: Header=BB10_49 Depth=1
	s_andn2_saveexec_b64 vcc, s[44:45]
	s_cbranch_execz .LBB10_389
; %bb.388:                              ;   in Loop: Header=BB10_49 Depth=1
	s_waitcnt lgkmcnt(0)
	s_barrier
.LBB10_389:                             ;   in Loop: Header=BB10_49 Depth=1
	s_or_b64 exec, exec, vcc
.LBB10_390:                             ;   in Loop: Header=BB10_49 Depth=1
	s_or_b64 exec, exec, s[42:43]
	v_and_b32_e32 v0, 16, v62
	v_cmp_ne_u32_e32 vcc, 0, v0
	s_and_b64 vcc, vcc, s[18:19]
	s_and_saveexec_b64 s[18:19], vcc
	s_cbranch_execz .LBB10_392
; %bb.391:                              ;   in Loop: Header=BB10_49 Depth=1
	buffer_wbl2 sc1
	s_waitcnt vmcnt(0) lgkmcnt(0)
	buffer_inv sc1
.LBB10_392:                             ;   in Loop: Header=BB10_49 Depth=1
	s_or_b64 exec, exec, s[18:19]
	v_cmp_ne_u32_e32 vcc, 0, v0
	s_xor_b64 s[18:19], s[16:17], -1
	s_and_b64 vcc, vcc, s[18:19]
	s_and_saveexec_b64 s[18:19], vcc
	s_cbranch_execz .LBB10_394
; %bb.393:                              ;   in Loop: Header=BB10_49 Depth=1
	v_accvgpr_read_b32 v0, a24
	v_accvgpr_read_b32 v1, a25
	v_mov_b32_e32 v2, 1
	flat_store_dword v[0:1], v2 sc0 sc1
.LBB10_394:                             ;   in Loop: Header=BB10_49 Depth=1
	s_or_b64 exec, exec, s[18:19]
	v_and_b32_e32 v0, 48, v62
	v_cmp_ne_u32_e32 vcc, 0, v0
	s_and_saveexec_b64 s[18:19], vcc
	s_cbranch_execz .LBB10_396
; %bb.395:                              ;   in Loop: Header=BB10_49 Depth=1
	v_accvgpr_read_b32 v0, a8
	v_accvgpr_read_b32 v2, a10
	;; [unrolled: 1-line block ×3, first 2 shown]
	v_lshl_add_u64 v[2:3], v[2:3], 0, 1
	v_accvgpr_read_b32 v1, a9
	v_accvgpr_write_b32 a11, v3
	v_accvgpr_write_b32 a10, v2
	;; [unrolled: 1-line block ×4, first 2 shown]
	flat_store_dwordx2 v[44:45], v[2:3] sc0 sc1
.LBB10_396:                             ;   in Loop: Header=BB10_49 Depth=1
	s_or_b64 exec, exec, s[18:19]
	v_mov_b32_e32 v2, v38
.LBB10_397:                             ;   in Loop: Header=BB10_49 Depth=1
	s_or_b64 exec, exec, s[40:41]
	s_and_saveexec_b64 s[40:41], s[38:39]
	s_cbranch_execz .LBB10_48
; %bb.398:                              ;   in Loop: Header=BB10_49 Depth=1
	v_accvgpr_read_b32 v4, a8
	v_and_b32_e32 v0, 12, v62
	v_accvgpr_read_b32 v6, a10
	v_accvgpr_read_b32 v7, a11
	v_cmp_ne_u32_e32 vcc, 0, v0
	s_mov_b64 s[38:39], -1
	v_lshl_add_u64 v[10:11], v[6:7], 0, 1
	v_accvgpr_read_b32 v5, a9
	s_and_saveexec_b64 s[18:19], vcc
	s_cbranch_execz .LBB10_410
; %bb.399:                              ;   in Loop: Header=BB10_49 Depth=1
	v_accvgpr_read_b32 v6, a8
	v_and_b32_e32 v54, 8, v62
	v_accvgpr_read_b32 v8, a10
	v_accvgpr_read_b32 v9, a11
	v_lshl_add_u64 v[4:5], v[46:47], 0, v[54:55]
	v_lshl_add_u64 v[0:1], v[8:9], 0, 1
	v_cmp_lt_u64_e32 vcc, v[4:5], v[0:1]
	v_mov_b32_e32 v3, 1
	v_accvgpr_read_b32 v7, a9
	s_and_saveexec_b64 s[38:39], vcc
	s_cbranch_execz .LBB10_409
; %bb.400:                              ;   in Loop: Header=BB10_49 Depth=1
	s_mov_b64 s[42:43], 0
	v_mov_b32_e32 v3, 0
                                        ; implicit-def: $sgpr44_sgpr45
	s_branch .LBB10_404
.LBB10_401:                             ;   in Loop: Header=BB10_404 Depth=2
	s_or_b64 exec, exec, s[52:53]
	v_mov_b32_e32 v12, 0
	s_orn2_b64 s[50:51], s[50:51], exec
.LBB10_402:                             ;   in Loop: Header=BB10_404 Depth=2
	s_or_b64 exec, exec, s[48:49]
	s_andn2_b64 vcc, s[44:45], exec
	s_and_b64 s[44:45], s[50:51], exec
	s_or_b64 s[44:45], vcc, s[44:45]
	v_mov_b32_e32 v3, v12
.LBB10_403:                             ;   in Loop: Header=BB10_404 Depth=2
	s_or_b64 exec, exec, s[46:47]
	s_waitcnt vmcnt(0) lgkmcnt(0)
	v_lshl_add_u64 v[4:5], v[46:47], 0, v[54:55]
	v_cmp_ge_u64_e32 vcc, v[4:5], v[0:1]
	s_xor_b64 s[46:47], s[44:45], -1
	s_or_b64 vcc, s[46:47], vcc
	s_and_b64 vcc, exec, vcc
	s_or_b64 s[42:43], vcc, s[42:43]
	s_andn2_b64 exec, exec, s[42:43]
	s_cbranch_execz .LBB10_408
.LBB10_404:                             ;   Parent Loop BB10_49 Depth=1
                                        ; =>  This Inner Loop Header: Depth=2
	s_sleep 1
	flat_load_dwordx2 v[46:47], v[44:45] sc0 sc1
	v_and_b32_e32 v4, 64, v62
	v_cmp_eq_u32_e32 vcc, 0, v4
	s_andn2_b64 s[44:45], s[44:45], exec
	s_and_saveexec_b64 s[46:47], vcc
	s_cbranch_execz .LBB10_403
; %bb.405:                              ;   in Loop: Header=BB10_404 Depth=2
	v_add_u32_e32 v12, 1, v3
	v_cmp_lt_i32_e32 vcc, s63, v3
	s_mov_b64 s[50:51], -1
	s_and_saveexec_b64 s[48:49], vcc
	s_cbranch_execz .LBB10_402
; %bb.406:                              ;   in Loop: Header=BB10_404 Depth=2
	s_trap 2
	ds_read_b64 v[4:5], v0
	s_waitcnt vmcnt(0) lgkmcnt(0)
	flat_load_dword v3, v[4:5] sc0 sc1
	s_waitcnt vmcnt(0) lgkmcnt(0)
	buffer_inv sc0 sc1
	v_cmp_ne_u32_e32 vcc, 0, v3
	s_and_saveexec_b64 s[52:53], vcc
	s_cbranch_execz .LBB10_401
; %bb.407:                              ;   in Loop: Header=BB10_404 Depth=2
	v_or_b32_e32 v62, 64, v62
	s_xor_b64 s[50:51], exec, -1
	ds_write_b32 v0, v3
	s_trap 2
	s_branch .LBB10_401
.LBB10_408:                             ;   in Loop: Header=BB10_49 Depth=1
	s_or_b64 exec, exec, s[42:43]
	v_and_b32_e32 v3, 12, v62
.LBB10_409:                             ;   in Loop: Header=BB10_49 Depth=1
	s_or_b64 exec, exec, s[38:39]
	v_cmp_eq_u32_e32 vcc, 0, v3
	s_orn2_b64 s[38:39], vcc, exec
	;;#ASMSTART
	s_wakeup
	;;#ASMEND
.LBB10_410:                             ;   in Loop: Header=BB10_49 Depth=1
	s_or_b64 exec, exec, s[18:19]
	v_accvgpr_read_b32 v0, a38
	v_sub_u32_e32 v0, v0, v2
	s_xor_b64 s[18:19], s[38:39], -1
	v_min_i32_e32 v0, v38, v0
	s_and_saveexec_b64 s[38:39], s[18:19]
	s_cbranch_execz .LBB10_422
; %bb.411:                              ;   in Loop: Header=BB10_49 Depth=1
	v_accvgpr_read_b32 v2, a8
	v_and_b32_e32 v1, 0x108, v62
	v_accvgpr_read_b32 v4, a10
	v_cmp_ne_u32_e32 vcc, s64, v1
	v_and_b32_e32 v8, 7, v4
	v_accvgpr_read_b32 v3, a9
	s_and_saveexec_b64 s[18:19], vcc
	s_xor_b64 s[18:19], exec, s[18:19]
	s_andn2_saveexec_b64 s[18:19], s[18:19]
	s_cbranch_execz .LBB10_413
; %bb.412:                              ;   in Loop: Header=BB10_49 Depth=1
	v_accvgpr_read_b32 v2, a8
	v_accvgpr_read_b32 v3, a9
	v_ashrrev_i32_e32 v1, 31, v0
	v_mad_u64_u32 v[2:3], vcc, v8, 24, v[2:3]
	v_lshlrev_b64 v[4:5], 1, v[0:1]
	flat_store_dwordx2 v[2:3], v[4:5] offset:8
.LBB10_413:                             ;   in Loop: Header=BB10_49 Depth=1
	s_or_b64 exec, exec, s[18:19]
	v_and_b32_e32 v1, 0x100, v62
	v_cmp_ne_u32_e32 vcc, 0, v1
	s_mov_b64 s[18:19], -1
                                        ; implicit-def: $vgpr12_vgpr13
	s_and_saveexec_b64 s[42:43], vcc
	s_cbranch_execz .LBB10_417
; %bb.414:                              ;   in Loop: Header=BB10_49 Depth=1
	v_accvgpr_read_b32 v2, a8
	v_accvgpr_read_b32 v3, a9
	v_mad_u64_u32 v[2:3], s[18:19], v8, 24, v[2:3]
	v_mov_b32_e32 v4, v3
	v_mad_u64_u32 v[4:5], s[18:19], v55, 24, v[4:5]
	v_mov_b32_e32 v3, v4
	flat_load_dword v1, v[2:3]
                                        ; implicit-def: $vgpr12_vgpr13
	s_waitcnt vmcnt(0) lgkmcnt(0)
	v_cmp_ne_u32_e32 vcc, 1, v1
	v_cmp_eq_u32_e64 s[18:19], 1, v1
	s_and_saveexec_b64 s[44:45], s[18:19]
	s_cbranch_execz .LBB10_416
; %bb.415:                              ;   in Loop: Header=BB10_49 Depth=1
	flat_load_dword v2, v[2:3] offset:4 sc0 sc1
	s_waitcnt vmcnt(0) lgkmcnt(0)
	v_ashrrev_i32_e32 v3, 31, v2
	v_lshrrev_b64 v[12:13], 1, v[2:3]
.LBB10_416:                             ;   in Loop: Header=BB10_49 Depth=1
	s_or_b64 exec, exec, s[44:45]
	s_orn2_b64 s[18:19], vcc, exec
.LBB10_417:                             ;   in Loop: Header=BB10_49 Depth=1
	s_or_b64 exec, exec, s[42:43]
	s_and_saveexec_b64 vcc, s[18:19]
; %bb.418:                              ;   in Loop: Header=BB10_49 Depth=1
	v_accvgpr_read_b32 v4, a14
	v_mul_lo_u32 v1, v55, v4
	v_mul_lo_u32 v2, v8, v59
	v_mad_u64_u32 v[12:13], s[18:19], v8, v4, 0
	v_add3_u32 v13, v13, v2, v1
; %bb.419:                              ;   in Loop: Header=BB10_49 Depth=1
	s_or_b64 exec, exec, vcc
	v_accvgpr_read_b32 v2, a18
	v_accvgpr_read_b32 v3, a19
	v_and_b32_e32 v1, 0x2000, v62
	v_lshl_add_u64 v[2:3], v[12:13], 1, v[2:3]
	v_cmp_ne_u32_e32 vcc, 0, v1
	s_trap 2
	ds_write_b64 v0, v[2:3]
	s_and_saveexec_b64 s[18:19], vcc
	s_cbranch_execz .LBB10_421
; %bb.420:                              ;   in Loop: Header=BB10_49 Depth=1
	ds_read_b64 v[2:3], v0 offset:584
	s_waitcnt lgkmcnt(0)
	v_lshl_add_u64 v[2:3], v[2:3], 0, 1
	ds_write_b64 v0, v[2:3] offset:584
.LBB10_421:                             ;   in Loop: Header=BB10_49 Depth=1
	s_or_b64 exec, exec, s[18:19]
	v_accvgpr_write_b32 a10, v10
	v_accvgpr_write_b32 a11, v11
.LBB10_422:                             ;   in Loop: Header=BB10_49 Depth=1
	s_or_b64 exec, exec, s[38:39]
	s_and_saveexec_b64 s[18:19], s[6:7]
	s_cbranch_execz .LBB10_441
; %bb.423:                              ;   in Loop: Header=BB10_49 Depth=1
	s_and_saveexec_b64 vcc, s[28:29]
	s_xor_b64 s[38:39], exec, vcc
	s_cbranch_execz .LBB10_438
; %bb.424:                              ;   in Loop: Header=BB10_49 Depth=1
	s_and_saveexec_b64 s[42:43], s[10:11]
	s_cbranch_execz .LBB10_437
; %bb.425:                              ;   in Loop: Header=BB10_49 Depth=1
	s_mov_b64 s[46:47], exec
	v_mbcnt_lo_u32_b32 v1, s46, 0
	v_mbcnt_hi_u32_b32 v1, s47, v1
	v_cmp_eq_u32_e32 vcc, 0, v1
	s_waitcnt lgkmcnt(0)
	s_and_saveexec_b64 s[44:45], vcc
	s_cbranch_execz .LBB10_427
; %bb.426:                              ;   in Loop: Header=BB10_49 Depth=1
	s_bcnt1_i32_b64 vcc_lo, s[46:47]
	v_mov_b32_e32 v54, vcc_lo
	ds_add_u64 v0, v[54:55]
	s_trap 2
.LBB10_427:                             ;   in Loop: Header=BB10_49 Depth=1
	s_or_b64 exec, exec, s[44:45]
	s_trap 2
	ds_read_b64 v[2:3], v0
	v_accvgpr_read_b32 v4, a20
	v_accvgpr_read_b32 v6, a22
	;; [unrolled: 1-line block ×4, first 2 shown]
	v_lshl_add_u64 v[4:5], v[4:5], 0, v[6:7]
	v_accvgpr_write_b32 a21, v5
	v_accvgpr_write_b32 a20, v4
	s_waitcnt lgkmcnt(0)
	v_cmp_lt_u64_e32 vcc, v[2:3], v[4:5]
	s_and_saveexec_b64 s[44:45], vcc
	s_cbranch_execz .LBB10_436
; %bb.428:                              ;   in Loop: Header=BB10_49 Depth=1
	s_mov_b32 s56, 0
	s_mov_b64 s[46:47], 0
                                        ; implicit-def: $sgpr48_sgpr49
                                        ; implicit-def: $sgpr50_sgpr51
	s_branch .LBB10_430
.LBB10_429:                             ;   in Loop: Header=BB10_430 Depth=2
	s_or_b64 exec, exec, s[54:55]
	s_and_b64 vcc, exec, vcc
	s_or_b64 s[46:47], vcc, s[46:47]
	s_andn2_b64 vcc, s[48:49], exec
	s_and_b64 s[48:49], s[50:51], exec
	s_or_b64 s[48:49], vcc, s[48:49]
	s_andn2_b64 exec, exec, s[46:47]
	s_cbranch_execz .LBB10_434
.LBB10_430:                             ;   Parent Loop BB10_49 Depth=1
                                        ; =>  This Inner Loop Header: Depth=2
	s_add_i32 s56, s56, 1
	s_cmpk_lg_i32 s56, 0x2710
	s_cselect_b64 s[52:53], -1, 0
	s_and_b64 vcc, exec, s[52:53]
                                        ; implicit-def: $sgpr54_sgpr55
	s_cbranch_vccnz .LBB10_432
; %bb.431:                              ;   in Loop: Header=BB10_430 Depth=2
	s_trap 2
	ds_read_b64 v[2:3], v0
	s_andn2_b64 s[52:53], s[52:53], exec
	s_mov_b32 s56, 0
	s_mov_b64 s[54:55], -1
	s_waitcnt vmcnt(0) lgkmcnt(0)
	flat_load_dword v1, v[2:3] sc0 sc1
	s_waitcnt vmcnt(0) lgkmcnt(0)
	buffer_inv sc0 sc1
	v_cmp_eq_u32_e32 vcc, 0, v1
	s_and_b64 vcc, vcc, exec
	s_or_b64 s[52:53], s[52:53], vcc
.LBB10_432:                             ;   in Loop: Header=BB10_430 Depth=2
	s_andn2_b64 s[50:51], s[50:51], exec
	s_and_b64 s[54:55], s[54:55], exec
	s_mov_b64 vcc, -1
	s_or_b64 s[50:51], s[50:51], s[54:55]
	s_and_saveexec_b64 s[54:55], s[52:53]
	s_cbranch_execz .LBB10_429
; %bb.433:                              ;   in Loop: Header=BB10_430 Depth=2
	s_sleep 1
	s_trap 2
	ds_read_b64 v[2:3], v0
	v_accvgpr_read_b32 v4, a20
	v_accvgpr_read_b32 v5, a21
	s_andn2_b64 s[50:51], s[50:51], exec
	s_waitcnt lgkmcnt(0)
	v_cmp_ge_u64_e32 vcc, v[2:3], v[4:5]
	s_orn2_b64 vcc, vcc, exec
	s_branch .LBB10_429
.LBB10_434:                             ;   in Loop: Header=BB10_49 Depth=1
	s_or_b64 exec, exec, s[46:47]
	s_and_saveexec_b64 vcc, s[48:49]
	s_xor_b64 vcc, exec, vcc
	s_cbranch_execz .LBB10_436
; %bb.435:                              ;   in Loop: Header=BB10_49 Depth=1
	v_mov_b32_e32 v1, 1
	ds_write_b32 v0, v1
	s_trap 2
.LBB10_436:                             ;   in Loop: Header=BB10_49 Depth=1
	s_or_b64 exec, exec, s[44:45]
	;;#ASMSTART
	s_wakeup
	;;#ASMEND
.LBB10_437:                             ;   in Loop: Header=BB10_49 Depth=1
	s_or_b64 exec, exec, s[42:43]
.LBB10_438:                             ;   in Loop: Header=BB10_49 Depth=1
	s_andn2_saveexec_b64 vcc, s[38:39]
	s_cbranch_execz .LBB10_440
; %bb.439:                              ;   in Loop: Header=BB10_49 Depth=1
	s_waitcnt lgkmcnt(0)
	s_barrier
.LBB10_440:                             ;   in Loop: Header=BB10_49 Depth=1
	s_or_b64 exec, exec, vcc
.LBB10_441:                             ;   in Loop: Header=BB10_49 Depth=1
	s_or_b64 exec, exec, s[18:19]
	s_trap 2
	ds_read_b32 v1, v0
	v_cmp_lt_i32_e32 vcc, 0, v0
	v_and_b32_e32 v0, 16, v62
	s_waitcnt lgkmcnt(0)
	v_readfirstlane_b32 s18, v1
	s_cmp_eq_u32 s18, 0
	s_cselect_b64 s[18:19], -1, 0
	s_and_b64 s[18:19], vcc, s[18:19]
	v_cmp_ne_u32_e32 vcc, 0, v0
	s_and_b64 vcc, vcc, s[18:19]
	s_and_saveexec_b64 s[18:19], vcc
	s_cbranch_execz .LBB10_443
; %bb.442:                              ;   in Loop: Header=BB10_49 Depth=1
	buffer_wbl2 sc1
	s_waitcnt vmcnt(0)
	buffer_inv sc1
.LBB10_443:                             ;   in Loop: Header=BB10_49 Depth=1
	s_or_b64 exec, exec, s[18:19]
	v_cmp_ne_u32_e32 vcc, 0, v0
	s_xor_b64 s[18:19], s[16:17], -1
	s_and_b64 vcc, vcc, s[18:19]
	s_and_saveexec_b64 s[18:19], vcc
	s_cbranch_execz .LBB10_445
; %bb.444:                              ;   in Loop: Header=BB10_49 Depth=1
	v_accvgpr_read_b32 v0, a24
	v_accvgpr_read_b32 v1, a25
	v_mov_b32_e32 v2, 1
	flat_store_dword v[0:1], v2 sc0 sc1
.LBB10_445:                             ;   in Loop: Header=BB10_49 Depth=1
	s_or_b64 exec, exec, s[18:19]
	v_and_b32_e32 v0, 48, v62
	v_cmp_ne_u32_e32 vcc, 0, v0
	s_and_saveexec_b64 s[18:19], vcc
	s_cbranch_execz .LBB10_47
; %bb.446:                              ;   in Loop: Header=BB10_49 Depth=1
	v_accvgpr_read_b32 v0, a8
	v_accvgpr_read_b32 v2, a10
	v_accvgpr_read_b32 v3, a11
	v_lshl_add_u64 v[2:3], v[2:3], 0, 1
	v_accvgpr_read_b32 v1, a9
	v_accvgpr_write_b32 a11, v3
	v_accvgpr_write_b32 a10, v2
	;; [unrolled: 1-line block ×4, first 2 shown]
	flat_store_dwordx2 v[44:45], v[2:3] sc0 sc1
	s_branch .LBB10_47
.LBB10_447:
	s_or_b64 exec, exec, s[30:31]
	v_accvgpr_read_b32 v53, a11
	v_accvgpr_read_b32 v52, a10
	;; [unrolled: 1-line block ×4, first 2 shown]
.LBB10_448:
	s_or_b64 exec, exec, s[26:27]
                                        ; implicit-def: $vgpr40_vgpr41
                                        ; implicit-def: $vgpr54_vgpr55
                                        ; implicit-def: $vgpr56
                                        ; implicit-def: $vgpr46_vgpr47
                                        ; implicit-def: $agpr18_agpr19
                                        ; implicit-def: $vgpr44_vgpr45
                                        ; implicit-def: $vgpr58
                                        ; implicit-def: $vgpr17
                                        ; implicit-def: $vgpr34_vgpr35
.LBB10_449:
	s_andn2_saveexec_b64 s[16:17], s[24:25]
	s_cbranch_execz .LBB10_846
; %bb.450:
	v_mov_b64_e32 v[0:1], 0
	v_accvgpr_write_b32 a21, v1
	v_accvgpr_write_b32 a20, v0
	s_and_saveexec_b64 s[18:19], s[2:3]
	s_cbranch_execz .LBB10_845
; %bb.451:
	v_and_b32_e32 v0, 63, v31
	v_cmp_eq_u32_e64 s[6:7], 0, v0
	v_ashrrev_i32_e32 v0, 31, v58
	v_lshrrev_b32_e32 v0, 26, v0
	v_add_u32_e32 v0, v58, v0
	v_ashrrev_i32_e32 v57, 6, v0
	v_and_b32_e32 v0, 0xffffffc0, v0
	v_sub_u32_e32 v1, v58, v0
	v_lshlrev_b32_e32 v0, 12, v57
	v_lshl_add_u32 v0, v1, 4, v0
	v_cmp_le_i32_e64 s[10:11], v1, v17
	v_cmp_gt_i32_e64 s[12:13], 1, v1
	v_accvgpr_write_b32 a17, v1
	v_ashrrev_i32_e32 v1, 31, v0
	v_accvgpr_write_b32 a27, v1
	v_lshrrev_b32_e32 v6, 6, v42
	v_accvgpr_write_b32 a26, v0
	v_mov_b32_e32 v0, 0xfffff000
	v_lshl_add_u32 v0, v6, 12, v0
	v_ashrrev_i32_e32 v1, 31, v0
	s_mov_b64 s[14:15], 0x1000
	v_accvgpr_write_b32 a8, v32
	v_lshl_add_u64 v[0:1], v[0:1], 0, s[14:15]
	v_accvgpr_write_b32 a9, v33
	v_accvgpr_write_b32 a29, v1
	v_lshlrev_b32_e32 v32, 10, v6
	v_accvgpr_write_b32 a28, v0
	v_add_u32_e32 v0, 0xfffffc00, v32
	v_ashrrev_i32_e32 v1, 31, v0
	s_mov_b64 s[14:15], 0x400
	v_lshl_add_u64 v[36:37], v[0:1], 0, s[14:15]
	v_mov_b32_e32 v0, 0xfffff800
	v_lshl_add_u32 v0, v6, 11, v0
	s_waitcnt vmcnt(0) lgkmcnt(0)
	v_accvgpr_write_b32 a14, v44
	v_ashrrev_i32_e32 v1, 31, v0
	s_mov_b64 s[14:15], 0x800
	v_lshlrev_b32_e32 v33, 7, v6
	v_accvgpr_write_b32 a15, v45
	v_lshl_add_u64 v[44:45], v[0:1], 0, s[14:15]
	v_add_u32_e32 v0, 0xffffff80, v33
	v_mov_b32_e32 v59, 0
	v_ashrrev_i32_e32 v1, 31, v0
	s_mov_b64 s[14:15], 0x80
	s_lshr_b32 s2, s60, 27
	v_mov_b32_e32 v7, v59
	v_lshl_add_u64 v[38:39], v[0:1], 0, s[14:15]
	v_mov_b64_e32 v[60:61], 0
	v_accvgpr_write_b32 a4, v40
	s_add_i32 s2, s60, s2
	v_cmp_eq_u32_e32 vcc, 64, v42
	v_accvgpr_write_b32 a20, v60
	v_accvgpr_write_b32 a2, v54
	;; [unrolled: 1-line block ×6, first 2 shown]
	s_ashr_i32 s56, s2, 5
	v_cmp_ge_i32_e64 s[2:3], v58, v42
	v_cmp_ne_u32_e64 s[4:5], 64, v42
	v_cmp_ne_u32_sdwa s[24:25], v43, v42 src0_sel:WORD_0 src1_sel:DWORD
	s_movk_i32 s57, 0xfc00
	s_mov_b64 s[26:27], 0
	s_movk_i32 s58, 0x270e
	s_xor_b64 s[28:29], vcc, -1
	s_mov_b32 s59, 0x7f800000
	s_movk_i32 s61, 0x7fff
	s_mov_b32 s62, 0xffff0000
	s_mov_b64 s[30:31], 0x780
	v_accvgpr_write_b32 a21, v61
	v_accvgpr_write_b32 a0, v58
	;; [unrolled: 1-line block ×9, first 2 shown]
	s_trap 2
	s_branch .LBB10_454
.LBB10_452:                             ;   in Loop: Header=BB10_454 Depth=1
	s_or_b64 exec, exec, s[14:15]
.LBB10_453:                             ;   in Loop: Header=BB10_454 Depth=1
	s_or_b64 exec, exec, s[36:37]
	v_accvgpr_read_b32 v35, a23
	v_accvgpr_read_b32 v34, a22
	v_lshl_add_u64 v[60:61], v[60:61], 0, v[34:35]
	v_cmp_ge_u64_e32 vcc, v[60:61], v[54:55]
	s_or_b64 s[26:27], vcc, s[26:27]
	s_andn2_b64 exec, exec, s[26:27]
	s_cbranch_execz .LBB10_844
.LBB10_454:                             ; =>This Loop Header: Depth=1
                                        ;     Child Loop BB10_465 Depth 2
                                        ;     Child Loop BB10_487 Depth 2
	;; [unrolled: 1-line block ×10, first 2 shown]
	v_sub_co_u32_e32 v0, vcc, v54, v60
	v_accvgpr_write_b32 a22, v34
	s_nop 0
	v_subb_co_u32_e32 v1, vcc, v55, v61, vcc
	v_cmp_lt_u64_e32 vcc, v[34:35], v[0:1]
	v_accvgpr_write_b32 a23, v35
	s_nop 0
	v_cndmask_b32_e64 v49, v1, 0, vcc
	v_cndmask_b32_e32 v48, v0, v34, vcc
	v_add_u32_e32 v0, 15, v48
	v_cmp_eq_u64_e32 vcc, 0, v[48:49]
	v_and_b32_e32 v0, 0x3ffffff0, v0
	s_or_b64 s[34:35], s[2:3], vcc
	v_max_i32_e32 v34, s56, v0
	s_xor_b64 s[14:15], s[34:35], -1
	v_mov_b32_e32 v0, 0
	s_and_saveexec_b64 s[36:37], s[14:15]
	s_cbranch_execz .LBB10_798
; %bb.455:                              ;   in Loop: Header=BB10_454 Depth=1
	s_and_saveexec_b64 s[14:15], s[0:1]
	s_cbranch_execz .LBB10_457
; %bb.456:                              ;   in Loop: Header=BB10_454 Depth=1
	s_trap 2
	ds_read2_b64 v[0:3], v0 offset1:1
	v_accvgpr_read_b32 v4, a4
	v_accvgpr_read_b32 v5, a5
	v_lshl_add_u64 v[4:5], v[60:61], 0, v[4:5]
	v_lshlrev_b64 v[4:5], 1, v[4:5]
	s_waitcnt lgkmcnt(0)
	ds_read_b64 v[6:7], v0
	v_lshl_add_u64 v[0:1], v[0:1], 0, v[4:5]
	ds_write_b64 v0, v[0:1]
	v_lshl_add_u64 v[0:1], v[2:3], 0, v[4:5]
	ds_write_b64 v0, v[0:1]
	s_waitcnt lgkmcnt(0)
	v_lshl_add_u64 v[0:1], v[6:7], 0, v[4:5]
	v_cmp_ne_u64_e32 vcc, 0, v[6:7]
	v_accvgpr_read_b32 v6, a24
	v_accvgpr_read_b32 v7, a25
	v_cndmask_b32_e32 v1, 0, v1, vcc
	v_cndmask_b32_e32 v0, 0, v0, vcc
	ds_write_b64 v0, v[0:1]
.LBB10_457:                             ;   in Loop: Header=BB10_454 Depth=1
	s_or_b64 exec, exec, s[14:15]
	v_and_b32_e32 v0, 4, v62
	v_cmp_ne_u32_e32 vcc, 0, v0
	s_mov_b64 s[38:39], -1
	v_lshl_add_u64 v[10:11], v[52:53], 0, 1
	s_and_saveexec_b64 s[14:15], vcc
	s_cbranch_execnz .LBB10_460
; %bb.458:                              ;   in Loop: Header=BB10_454 Depth=1
	s_or_b64 exec, exec, s[14:15]
	s_xor_b64 s[14:15], s[38:39], -1
	s_and_saveexec_b64 s[38:39], s[14:15]
	s_cbranch_execnz .LBB10_471
.LBB10_459:                             ;   in Loop: Header=BB10_454 Depth=1
	s_or_b64 exec, exec, s[38:39]
	s_and_saveexec_b64 s[14:15], s[4:5]
	s_cbranch_execnz .LBB10_480
	s_branch .LBB10_498
.LBB10_460:                             ;   in Loop: Header=BB10_454 Depth=1
	v_lshl_add_u64 v[12:13], v[52:53], 0, 1
	v_cmp_lt_u64_e32 vcc, v[46:47], v[12:13]
	v_mov_b32_e32 v0, 1
	s_and_saveexec_b64 s[38:39], vcc
	s_cbranch_execz .LBB10_470
; %bb.461:                              ;   in Loop: Header=BB10_454 Depth=1
	s_mov_b64 s[40:41], 0
	v_mov_b32_e32 v0, 0
                                        ; implicit-def: $sgpr42_sgpr43
	s_branch .LBB10_465
.LBB10_462:                             ;   in Loop: Header=BB10_465 Depth=2
	s_or_b64 exec, exec, s[50:51]
	v_mov_b32_e32 v1, 0
	s_orn2_b64 s[48:49], s[48:49], exec
.LBB10_463:                             ;   in Loop: Header=BB10_465 Depth=2
	s_or_b64 exec, exec, s[46:47]
	s_andn2_b64 vcc, s[42:43], exec
	s_and_b64 s[42:43], s[48:49], exec
	s_or_b64 s[42:43], vcc, s[42:43]
	v_mov_b32_e32 v0, v1
.LBB10_464:                             ;   in Loop: Header=BB10_465 Depth=2
	s_or_b64 exec, exec, s[44:45]
	s_waitcnt vmcnt(0) lgkmcnt(0)
	v_cmp_ge_u64_e32 vcc, v[46:47], v[12:13]
	s_xor_b64 s[44:45], s[42:43], -1
	s_or_b64 vcc, s[44:45], vcc
	s_and_b64 vcc, exec, vcc
	s_or_b64 s[40:41], vcc, s[40:41]
	s_andn2_b64 exec, exec, s[40:41]
	s_cbranch_execz .LBB10_469
.LBB10_465:                             ;   Parent Loop BB10_454 Depth=1
                                        ; =>  This Inner Loop Header: Depth=2
	v_accvgpr_read_b32 v2, a14
	v_accvgpr_read_b32 v3, a15
	s_sleep 1
	flat_load_dwordx2 v[46:47], v[2:3] sc0 sc1
	v_and_b32_e32 v1, 64, v62
	v_cmp_eq_u32_e32 vcc, 0, v1
	s_andn2_b64 s[42:43], s[42:43], exec
	s_and_saveexec_b64 s[44:45], vcc
	s_cbranch_execz .LBB10_464
; %bb.466:                              ;   in Loop: Header=BB10_465 Depth=2
	v_add_u32_e32 v1, 1, v0
	v_cmp_lt_i32_e32 vcc, s58, v0
	s_mov_b64 s[48:49], -1
	s_and_saveexec_b64 s[46:47], vcc
	s_cbranch_execz .LBB10_463
; %bb.467:                              ;   in Loop: Header=BB10_465 Depth=2
	s_trap 2
	ds_read_b64 v[0:1], v0
	s_waitcnt vmcnt(0) lgkmcnt(0)
	flat_load_dword v0, v[0:1] sc0 sc1
	s_waitcnt vmcnt(0) lgkmcnt(0)
	buffer_inv sc0 sc1
	v_cmp_ne_u32_e32 vcc, 0, v0
	s_and_saveexec_b64 s[50:51], vcc
	s_cbranch_execz .LBB10_462
; %bb.468:                              ;   in Loop: Header=BB10_465 Depth=2
	v_or_b32_e32 v62, 64, v62
	s_xor_b64 s[48:49], exec, -1
	ds_write_b32 v0, v0
	s_trap 2
	s_branch .LBB10_462
.LBB10_469:                             ;   in Loop: Header=BB10_454 Depth=1
	s_or_b64 exec, exec, s[40:41]
	v_and_b32_e32 v0, 4, v62
.LBB10_470:                             ;   in Loop: Header=BB10_454 Depth=1
	s_or_b64 exec, exec, s[38:39]
	v_cmp_eq_u32_e32 vcc, 0, v0
	s_orn2_b64 s[38:39], vcc, exec
	;;#ASMSTART
	s_wakeup
	;;#ASMEND
	s_or_b64 exec, exec, s[14:15]
	s_xor_b64 s[14:15], s[38:39], -1
	s_and_saveexec_b64 s[38:39], s[14:15]
	s_cbranch_execz .LBB10_459
.LBB10_471:                             ;   in Loop: Header=BB10_454 Depth=1
	v_and_b32_e32 v0, 0x100, v62
	v_cmp_ne_u32_e32 vcc, 0, v0
	v_and_b32_e32 v0, 7, v52
	s_mov_b64 s[14:15], -1
                                        ; implicit-def: $vgpr8_vgpr9
	s_and_saveexec_b64 s[40:41], vcc
	s_cbranch_execz .LBB10_475
; %bb.472:                              ;   in Loop: Header=BB10_454 Depth=1
	v_mad_u64_u32 v[2:3], s[14:15], v0, 24, v[50:51]
	flat_load_dword v1, v[2:3]
                                        ; implicit-def: $vgpr8_vgpr9
	s_waitcnt vmcnt(0) lgkmcnt(0)
	v_cmp_ne_u32_e32 vcc, 1, v1
	v_cmp_eq_u32_e64 s[14:15], 1, v1
	s_and_saveexec_b64 s[42:43], s[14:15]
	s_cbranch_execz .LBB10_474
; %bb.473:                              ;   in Loop: Header=BB10_454 Depth=1
	flat_load_dword v2, v[2:3] offset:4 sc0 sc1
	s_waitcnt vmcnt(0) lgkmcnt(0)
	v_ashrrev_i32_e32 v3, 31, v2
	v_lshrrev_b64 v[8:9], 1, v[2:3]
.LBB10_474:                             ;   in Loop: Header=BB10_454 Depth=1
	s_or_b64 exec, exec, s[42:43]
	s_orn2_b64 s[14:15], vcc, exec
.LBB10_475:                             ;   in Loop: Header=BB10_454 Depth=1
	s_or_b64 exec, exec, s[40:41]
	s_and_saveexec_b64 vcc, s[14:15]
; %bb.476:                              ;   in Loop: Header=BB10_454 Depth=1
	v_mad_i64_i32 v[8:9], s[14:15], v0, v56, 0
; %bb.477:                              ;   in Loop: Header=BB10_454 Depth=1
	s_or_b64 exec, exec, vcc
	v_accvgpr_read_b32 v0, a18
	v_accvgpr_read_b32 v1, a19
	v_lshl_add_u64 v[0:1], v[8:9], 1, v[0:1]
	ds_write_b64 v0, v[0:1] offset:728
	v_and_b32_e32 v0, 0x2000, v62
	v_cmp_ne_u32_e32 vcc, 0, v0
	s_and_saveexec_b64 s[14:15], vcc
	s_cbranch_execz .LBB10_479
; %bb.478:                              ;   in Loop: Header=BB10_454 Depth=1
	ds_read_b64 v[0:1], v0 offset:584
	s_waitcnt lgkmcnt(0)
	v_lshl_add_u64 v[0:1], v[0:1], 0, 1
	ds_write_b64 v0, v[0:1] offset:584
.LBB10_479:                             ;   in Loop: Header=BB10_454 Depth=1
	s_or_b64 exec, exec, s[14:15]
	v_mov_b64_e32 v[52:53], v[10:11]
	s_or_b64 exec, exec, s[38:39]
	s_and_saveexec_b64 s[14:15], s[4:5]
	s_cbranch_execz .LBB10_498
.LBB10_480:                             ;   in Loop: Header=BB10_454 Depth=1
	s_and_saveexec_b64 vcc, s[24:25]
	s_xor_b64 s[38:39], exec, vcc
	s_cbranch_execz .LBB10_495
; %bb.481:                              ;   in Loop: Header=BB10_454 Depth=1
	s_and_saveexec_b64 s[40:41], s[6:7]
	s_cbranch_execz .LBB10_494
; %bb.482:                              ;   in Loop: Header=BB10_454 Depth=1
	s_mov_b64 s[44:45], exec
	v_mbcnt_lo_u32_b32 v0, s44, 0
	v_mbcnt_hi_u32_b32 v0, s45, v0
	v_cmp_eq_u32_e32 vcc, 0, v0
	s_waitcnt lgkmcnt(0)
	s_and_saveexec_b64 s[42:43], vcc
	s_cbranch_execz .LBB10_484
; %bb.483:                              ;   in Loop: Header=BB10_454 Depth=1
	s_bcnt1_i32_b64 vcc_lo, s[44:45]
	v_mov_b32_e32 v58, vcc_lo
	ds_add_u64 v0, v[58:59]
	v_accvgpr_read_b32 v58, a0
	s_trap 2
.LBB10_484:                             ;   in Loop: Header=BB10_454 Depth=1
	s_or_b64 exec, exec, s[42:43]
	s_trap 2
	ds_read_b64 v[0:1], v0
	v_accvgpr_read_b32 v2, a20
	v_accvgpr_read_b32 v3, a21
	v_lshl_add_u64 v[2:3], v[2:3], 0, v[6:7]
	v_accvgpr_write_b32 a21, v3
	v_accvgpr_write_b32 a20, v2
	s_waitcnt lgkmcnt(0)
	v_cmp_lt_u64_e32 vcc, v[0:1], v[2:3]
	s_and_saveexec_b64 s[42:43], vcc
	s_cbranch_execz .LBB10_493
; %bb.485:                              ;   in Loop: Header=BB10_454 Depth=1
	s_mov_b32 s54, 0
	s_mov_b64 s[44:45], 0
                                        ; implicit-def: $sgpr46_sgpr47
                                        ; implicit-def: $sgpr48_sgpr49
	s_branch .LBB10_487
.LBB10_486:                             ;   in Loop: Header=BB10_487 Depth=2
	s_or_b64 exec, exec, s[52:53]
	s_and_b64 vcc, exec, vcc
	s_or_b64 s[44:45], vcc, s[44:45]
	s_andn2_b64 vcc, s[46:47], exec
	s_and_b64 s[46:47], s[48:49], exec
	s_or_b64 s[46:47], vcc, s[46:47]
	s_andn2_b64 exec, exec, s[44:45]
	s_cbranch_execz .LBB10_491
.LBB10_487:                             ;   Parent Loop BB10_454 Depth=1
                                        ; =>  This Inner Loop Header: Depth=2
	s_add_i32 s54, s54, 1
	s_cmpk_lg_i32 s54, 0x2710
	s_cselect_b64 s[50:51], -1, 0
	s_and_b64 vcc, exec, s[50:51]
                                        ; implicit-def: $sgpr52_sgpr53
	s_cbranch_vccnz .LBB10_489
; %bb.488:                              ;   in Loop: Header=BB10_487 Depth=2
	s_trap 2
	ds_read_b64 v[0:1], v0
	s_andn2_b64 s[50:51], s[50:51], exec
	s_mov_b32 s54, 0
	s_mov_b64 s[52:53], -1
	s_waitcnt lgkmcnt(0)
	flat_load_dword v0, v[0:1] sc0 sc1
	s_waitcnt vmcnt(0) lgkmcnt(0)
	buffer_inv sc0 sc1
	v_cmp_eq_u32_e32 vcc, 0, v0
	s_and_b64 vcc, vcc, exec
	s_or_b64 s[50:51], s[50:51], vcc
.LBB10_489:                             ;   in Loop: Header=BB10_487 Depth=2
	s_andn2_b64 s[48:49], s[48:49], exec
	s_and_b64 s[52:53], s[52:53], exec
	s_mov_b64 vcc, -1
	s_or_b64 s[48:49], s[48:49], s[52:53]
	s_and_saveexec_b64 s[52:53], s[50:51]
	s_cbranch_execz .LBB10_486
; %bb.490:                              ;   in Loop: Header=BB10_487 Depth=2
	s_sleep 1
	s_trap 2
	ds_read_b64 v[0:1], v0
	v_accvgpr_read_b32 v2, a20
	v_accvgpr_read_b32 v3, a21
	s_andn2_b64 s[48:49], s[48:49], exec
	s_waitcnt lgkmcnt(0)
	v_cmp_ge_u64_e32 vcc, v[0:1], v[2:3]
	s_orn2_b64 vcc, vcc, exec
	s_branch .LBB10_486
.LBB10_491:                             ;   in Loop: Header=BB10_454 Depth=1
	s_or_b64 exec, exec, s[44:45]
	s_and_saveexec_b64 vcc, s[46:47]
	s_xor_b64 vcc, exec, vcc
	s_cbranch_execz .LBB10_493
; %bb.492:                              ;   in Loop: Header=BB10_454 Depth=1
	v_mov_b32_e32 v0, 1
	ds_write_b32 v0, v0
	s_trap 2
.LBB10_493:                             ;   in Loop: Header=BB10_454 Depth=1
	s_or_b64 exec, exec, s[42:43]
	;;#ASMSTART
	s_wakeup
	;;#ASMEND
.LBB10_494:                             ;   in Loop: Header=BB10_454 Depth=1
	s_or_b64 exec, exec, s[40:41]
.LBB10_495:                             ;   in Loop: Header=BB10_454 Depth=1
	s_andn2_saveexec_b64 vcc, s[38:39]
	s_cbranch_execz .LBB10_497
; %bb.496:                              ;   in Loop: Header=BB10_454 Depth=1
	s_waitcnt lgkmcnt(0)
	s_barrier
.LBB10_497:                             ;   in Loop: Header=BB10_454 Depth=1
	s_or_b64 exec, exec, vcc
.LBB10_498:                             ;   in Loop: Header=BB10_454 Depth=1
	s_or_b64 exec, exec, s[14:15]
	s_trap 2
	ds_read_b32 v1, v0
	v_and_b32_e32 v0, 0x4000, v62
	v_cmp_ne_u32_e32 vcc, 0, v0
	s_and_b64 vcc, s[28:29], vcc
	s_and_saveexec_b64 s[14:15], vcc
	s_cbranch_execz .LBB10_517
; %bb.499:                              ;   in Loop: Header=BB10_454 Depth=1
	s_and_saveexec_b64 vcc, s[24:25]
	s_xor_b64 s[38:39], exec, vcc
	s_cbranch_execz .LBB10_514
; %bb.500:                              ;   in Loop: Header=BB10_454 Depth=1
	s_and_saveexec_b64 s[40:41], s[6:7]
	s_cbranch_execz .LBB10_513
; %bb.501:                              ;   in Loop: Header=BB10_454 Depth=1
	s_mov_b64 s[44:45], exec
	v_mbcnt_lo_u32_b32 v0, s44, 0
	v_mbcnt_hi_u32_b32 v0, s45, v0
	v_cmp_eq_u32_e32 vcc, 0, v0
	s_waitcnt lgkmcnt(0)
	s_and_saveexec_b64 s[42:43], vcc
	s_cbranch_execz .LBB10_503
; %bb.502:                              ;   in Loop: Header=BB10_454 Depth=1
	s_bcnt1_i32_b64 vcc_lo, s[44:45]
	v_mov_b32_e32 v58, vcc_lo
	ds_add_u64 v0, v[58:59]
	v_accvgpr_read_b32 v58, a0
	s_trap 2
.LBB10_503:                             ;   in Loop: Header=BB10_454 Depth=1
	s_or_b64 exec, exec, s[42:43]
	s_trap 2
	ds_read_b64 v[2:3], v0
	v_accvgpr_read_b32 v4, a20
	v_accvgpr_read_b32 v5, a21
	v_lshl_add_u64 v[4:5], v[4:5], 0, v[6:7]
	v_accvgpr_write_b32 a21, v5
	v_accvgpr_write_b32 a20, v4
	s_waitcnt lgkmcnt(0)
	v_cmp_lt_u64_e32 vcc, v[2:3], v[4:5]
	s_and_saveexec_b64 s[42:43], vcc
	s_cbranch_execz .LBB10_512
; %bb.504:                              ;   in Loop: Header=BB10_454 Depth=1
	s_mov_b32 s54, 0
	s_mov_b64 s[44:45], 0
                                        ; implicit-def: $sgpr46_sgpr47
                                        ; implicit-def: $sgpr48_sgpr49
	s_branch .LBB10_506
.LBB10_505:                             ;   in Loop: Header=BB10_506 Depth=2
	s_or_b64 exec, exec, s[52:53]
	s_and_b64 vcc, exec, vcc
	s_or_b64 s[44:45], vcc, s[44:45]
	s_andn2_b64 vcc, s[46:47], exec
	s_and_b64 s[46:47], s[48:49], exec
	s_or_b64 s[46:47], vcc, s[46:47]
	s_andn2_b64 exec, exec, s[44:45]
	s_cbranch_execz .LBB10_510
.LBB10_506:                             ;   Parent Loop BB10_454 Depth=1
                                        ; =>  This Inner Loop Header: Depth=2
	s_add_i32 s54, s54, 1
	s_cmpk_lg_i32 s54, 0x2710
	s_cselect_b64 s[50:51], -1, 0
	s_and_b64 vcc, exec, s[50:51]
                                        ; implicit-def: $sgpr52_sgpr53
	s_cbranch_vccnz .LBB10_508
; %bb.507:                              ;   in Loop: Header=BB10_506 Depth=2
	s_trap 2
	ds_read_b64 v[2:3], v0
	s_andn2_b64 s[50:51], s[50:51], exec
	s_mov_b32 s54, 0
	s_mov_b64 s[52:53], -1
	s_waitcnt lgkmcnt(0)
	flat_load_dword v0, v[2:3] sc0 sc1
	s_waitcnt vmcnt(0) lgkmcnt(0)
	buffer_inv sc0 sc1
	v_cmp_eq_u32_e32 vcc, 0, v0
	s_and_b64 vcc, vcc, exec
	s_or_b64 s[50:51], s[50:51], vcc
.LBB10_508:                             ;   in Loop: Header=BB10_506 Depth=2
	s_andn2_b64 s[48:49], s[48:49], exec
	s_and_b64 s[52:53], s[52:53], exec
	s_mov_b64 vcc, -1
	s_or_b64 s[48:49], s[48:49], s[52:53]
	s_and_saveexec_b64 s[52:53], s[50:51]
	s_cbranch_execz .LBB10_505
; %bb.509:                              ;   in Loop: Header=BB10_506 Depth=2
	s_sleep 1
	s_trap 2
	ds_read_b64 v[2:3], v0
	v_accvgpr_read_b32 v4, a20
	v_accvgpr_read_b32 v5, a21
	s_andn2_b64 s[48:49], s[48:49], exec
	s_waitcnt lgkmcnt(0)
	v_cmp_ge_u64_e32 vcc, v[2:3], v[4:5]
	s_orn2_b64 vcc, vcc, exec
	s_branch .LBB10_505
.LBB10_510:                             ;   in Loop: Header=BB10_454 Depth=1
	s_or_b64 exec, exec, s[44:45]
	s_and_saveexec_b64 vcc, s[46:47]
	s_xor_b64 vcc, exec, vcc
	s_cbranch_execz .LBB10_512
; %bb.511:                              ;   in Loop: Header=BB10_454 Depth=1
	v_mov_b32_e32 v0, 1
	ds_write_b32 v0, v0
	s_trap 2
.LBB10_512:                             ;   in Loop: Header=BB10_454 Depth=1
	s_or_b64 exec, exec, s[42:43]
	;;#ASMSTART
	s_wakeup
	;;#ASMEND
.LBB10_513:                             ;   in Loop: Header=BB10_454 Depth=1
	s_or_b64 exec, exec, s[40:41]
.LBB10_514:                             ;   in Loop: Header=BB10_454 Depth=1
	s_andn2_saveexec_b64 vcc, s[38:39]
	s_cbranch_execz .LBB10_516
; %bb.515:                              ;   in Loop: Header=BB10_454 Depth=1
	s_waitcnt lgkmcnt(0)
	s_barrier
.LBB10_516:                             ;   in Loop: Header=BB10_454 Depth=1
	s_or_b64 exec, exec, vcc
.LBB10_517:                             ;   in Loop: Header=BB10_454 Depth=1
	s_or_b64 exec, exec, s[14:15]
	s_trap 2
	ds_read_b64 v[2:3], v0
	v_min_u32_e32 v34, v34, v48
	s_waitcnt lgkmcnt(0)
	v_readfirstlane_b32 s14, v2
	v_readfirstlane_b32 s15, v3
	s_cmp_eq_u64 s[14:15], 0
	s_cselect_b64 s[14:15], -1, 0
	s_or_b64 vcc, s[14:15], s[14:15]
	s_mov_b64 s[14:15], 0
	s_and_b64 vcc, exec, vcc
	s_cbranch_vccnz .LBB10_774
; %bb.518:                              ;   in Loop: Header=BB10_454 Depth=1
	s_mov_b64 s[14:15], -1
	s_and_saveexec_b64 s[38:39], s[10:11]
	s_cbranch_execz .LBB10_520
; %bb.519:                              ;   in Loop: Header=BB10_454 Depth=1
	ds_read_b32 v0, v0 offset:720
	s_waitcnt lgkmcnt(0)
	v_and_b32_e32 v0, 15, v0
	v_cmp_eq_u32_e32 vcc, 0, v0
	s_orn2_b64 s[14:15], vcc, exec
.LBB10_520:                             ;   in Loop: Header=BB10_454 Depth=1
	s_or_b64 exec, exec, s[38:39]
	s_and_saveexec_b64 s[38:39], s[12:13]
	s_cbranch_execz .LBB10_522
; %bb.521:                              ;   in Loop: Header=BB10_454 Depth=1
	ds_read_b32 v0, v0 offset:784
	s_waitcnt lgkmcnt(0)
	v_and_b32_e32 v0, 15, v0
	v_cmp_eq_u32_e32 vcc, 0, v0
	s_and_b64 vcc, s[14:15], vcc
	s_andn2_b64 s[14:15], s[14:15], exec
	s_and_b64 vcc, vcc, exec
	s_or_b64 s[14:15], s[14:15], vcc
.LBB10_522:                             ;   in Loop: Header=BB10_454 Depth=1
	s_or_b64 exec, exec, s[38:39]
	v_cmp_eq_u32_e32 vcc, 0, v1
	s_xor_b64 s[14:15], s[14:15], -1
	v_cndmask_b32_e64 v1, 0, 1, s[14:15]
	v_cndmask_b32_e32 v35, 0, v34, vcc
	v_mov_b32_e32 v0, 0
	v_lshlrev_b32_e32 v5, 1, v35
	s_mov_b64 s[40:41], -1
	;;#ASMSTART
	;;#ASMEND
	s_nop 0
	v_cmp_ne_u32_e32 vcc, 0, v1
	s_cbranch_vccz .LBB10_524
; %bb.523:                              ;   in Loop: Header=BB10_454 Depth=1
	v_mov_b32_e32 v1, v58
	v_mov_b32_e32 v2, v57
	s_and_saveexec_b64 s[14:15], s[40:41]
	s_cbranch_execnz .LBB10_697
	s_branch .LBB10_773
.LBB10_524:                             ;   in Loop: Header=BB10_454 Depth=1
	v_lshrrev_b32_e32 v0, 11, v35
	v_sub_u32_e32 v30, v0, v57
	v_cmp_lt_i32_e32 vcc, 0, v30
	s_and_saveexec_b64 s[14:15], vcc
	s_cbranch_execz .LBB10_656
; %bb.525:                              ;   in Loop: Header=BB10_454 Depth=1
	v_accvgpr_write_b32 a40, v0
	s_trap 2
	ds_read_b128 v[0:3], v0
	v_accvgpr_write_b32 a39, v5
	v_accvgpr_read_b32 v6, a26
	v_accvgpr_write_b32 a10, v50
	v_accvgpr_read_b32 v7, a27
	s_waitcnt lgkmcnt(0)
	ds_read_b64 v[4:5], v0
	v_accvgpr_write_b32 a38, v35
	v_accvgpr_write_b32 a37, v34
	;; [unrolled: 1-line block ×7, first 2 shown]
	v_lshl_add_u64 v[40:41], v[0:1], 0, v[6:7]
	v_lshl_add_u64 v[56:57], v[2:3], 0, v[6:7]
	s_waitcnt lgkmcnt(0)
	v_lshl_add_u64 v[52:53], v[4:5], 0, v[6:7]
	s_mov_b64 s[38:39], 0
	s_branch .LBB10_527
.LBB10_526:                             ;   in Loop: Header=BB10_527 Depth=2
	s_or_b64 exec, exec, s[40:41]
	v_lshrrev_b32_e32 v8, 16, v50
	v_lshrrev_b32_e32 v0, 16, v0
	v_and_or_b32 v8, v28, s62, v8
	v_and_or_b32 v28, v1, s62, v0
	v_lshrrev_b32_e32 v0, 16, v38
	v_lshrrev_b32_e32 v2, 16, v29
	v_and_or_b32 v29, v36, s62, v0
	v_lshrrev_b32_e32 v0, 16, v21
	v_lshrrev_b32_e32 v4, 16, v35
	;; [unrolled: 1-line block ×4, first 2 shown]
	v_and_or_b32 v21, v15, s62, v0
	v_lshrrev_b32_e32 v0, 16, v19
	v_and_or_b32 v3, v23, s62, v2
	v_lshrrev_b32_e32 v2, 16, v27
	v_and_or_b32 v4, v20, s62, v4
	v_and_or_b32 v7, v33, s62, v6
	v_lshrrev_b32_e32 v6, 16, v37
	v_lshrrev_b32_e32 v9, 16, v34
	v_and_or_b32 v27, v49, s62, v11
	v_lshrrev_b32_e32 v11, 16, v54
	v_and_or_b32 v20, v14, s62, v0
	;; [unrolled: 2-line block ×4, first 2 shown]
	v_and_or_b32 v9, v26, s62, v9
	v_and_or_b32 v26, v48, s62, v11
	;; [unrolled: 1-line block ×3, first 2 shown]
	v_lshrrev_b32_e32 v0, 16, v16
	v_and_or_b32 v5, v18, s62, v5
	v_and_or_b32 v23, v10, s62, v0
	global_store_dwordx4 v[52:53], v[26:29], off nt
	global_store_dwordx4 v[52:53], v[6:9], off offset:1024 nt
	global_store_dwordx4 v[52:53], v[2:5], off offset:2048 nt
	;; [unrolled: 1-line block ×3, first 2 shown]
	v_accvgpr_read_b32 v6, a24
	v_accvgpr_read_b32 v0, a28
	v_sub_u32_e32 v30, v30, v6
	v_accvgpr_read_b32 v1, a29
	v_cmp_gt_i32_e32 vcc, 1, v30
	v_lshl_add_u64 v[40:41], v[40:41], 0, v[0:1]
	v_lshl_add_u64 v[56:57], v[56:57], 0, v[0:1]
	v_accvgpr_read_b32 v7, a25
	s_or_b64 s[38:39], vcc, s[38:39]
	v_lshl_add_u64 v[52:53], v[52:53], 0, v[0:1]
	s_andn2_b64 exec, exec, s[38:39]
	s_cbranch_execz .LBB10_655
.LBB10_527:                             ;   Parent Loop BB10_454 Depth=1
                                        ; =>  This Inner Loop Header: Depth=2
	global_load_dwordx4 v[48:51], v[40:41], off nt
	global_load_dwordx4 v[32:35], v[40:41], off offset:1024 nt
	global_load_dwordx4 v[36:39], v[56:57], off nt
	global_load_dwordx4 v[22:25], v[40:41], off offset:2048 nt
	global_load_dwordx4 v[14:17], v[40:41], off offset:3072 nt
	;; [unrolled: 1-line block ×5, first 2 shown]
                                        ; implicit-def: $vgpr54
	s_waitcnt vmcnt(0)
	v_lshlrev_b32_e32 v2, 16, v48
	s_waitcnt vmcnt(5)
	v_lshlrev_b32_e32 v0, 16, v36
	v_pk_mul_f32 v[2:3], v[0:1], v[2:3] op_sel_hi:[0,1]
	v_and_b32_e32 v0, 0x7f800000, v2
	v_cmp_ne_u32_e32 vcc, s59, v0
	s_and_saveexec_b64 s[40:41], vcc
	s_xor_b64 vcc, exec, s[40:41]
; %bb.528:                              ;   in Loop: Header=BB10_527 Depth=2
	v_bfe_u32 v0, v2, 16, 1
	v_add3_u32 v54, v2, v0, s61
                                        ; implicit-def: $vgpr2_vgpr3
; %bb.529:                              ;   in Loop: Header=BB10_527 Depth=2
	s_andn2_saveexec_b64 s[40:41], vcc
; %bb.530:                              ;   in Loop: Header=BB10_527 Depth=2
	v_or_b32_e32 v0, 0x10000, v2
	v_cmp_eq_u32_sdwa vcc, v2, v59 src0_sel:WORD_0 src1_sel:DWORD
	s_nop 1
	v_cndmask_b32_e32 v54, v0, v2, vcc
; %bb.531:                              ;   in Loop: Header=BB10_527 Depth=2
	s_or_b64 exec, exec, s[40:41]
	v_and_b32_e32 v0, 0xffff0000, v36
	v_and_b32_e32 v2, 0xffff0000, v48
	v_pk_mul_f32 v[2:3], v[0:1], v[2:3] op_sel_hi:[0,1]
	v_and_b32_e32 v0, 0x7f800000, v2
	v_cmp_ne_u32_e32 vcc, s59, v0
                                        ; implicit-def: $vgpr48
	s_and_saveexec_b64 s[40:41], vcc
	s_xor_b64 vcc, exec, s[40:41]
; %bb.532:                              ;   in Loop: Header=BB10_527 Depth=2
	v_bfe_u32 v0, v2, 16, 1
	v_add3_u32 v48, v2, v0, s61
                                        ; implicit-def: $vgpr2_vgpr3
; %bb.533:                              ;   in Loop: Header=BB10_527 Depth=2
	s_andn2_saveexec_b64 s[40:41], vcc
; %bb.534:                              ;   in Loop: Header=BB10_527 Depth=2
	v_or_b32_e32 v0, 0x10000, v2
	v_cmp_eq_u32_sdwa vcc, v2, v59 src0_sel:WORD_0 src1_sel:DWORD
	s_nop 1
	v_cndmask_b32_e32 v48, v0, v2, vcc
; %bb.535:                              ;   in Loop: Header=BB10_527 Depth=2
	s_or_b64 exec, exec, s[40:41]
	v_mov_b32_e32 v3, v37
	v_lshlrev_b32_e32 v0, 16, v3
	v_lshlrev_b32_e32 v2, 16, v49
	v_pk_mul_f32 v[36:37], v[0:1], v[2:3] op_sel_hi:[0,1]
	v_and_b32_e32 v0, 0x7f800000, v36
	v_cmp_ne_u32_e32 vcc, s59, v0
                                        ; implicit-def: $vgpr55
	s_and_saveexec_b64 s[40:41], vcc
	s_xor_b64 vcc, exec, s[40:41]
; %bb.536:                              ;   in Loop: Header=BB10_527 Depth=2
	v_bfe_u32 v0, v36, 16, 1
	v_add3_u32 v55, v36, v0, s61
                                        ; implicit-def: $vgpr36_vgpr37
; %bb.537:                              ;   in Loop: Header=BB10_527 Depth=2
	s_andn2_saveexec_b64 s[40:41], vcc
; %bb.538:                              ;   in Loop: Header=BB10_527 Depth=2
	v_or_b32_e32 v0, 0x10000, v36
	v_cmp_eq_u32_sdwa vcc, v36, v59 src0_sel:WORD_0 src1_sel:DWORD
	s_nop 1
	v_cndmask_b32_e32 v55, v0, v36, vcc
; %bb.539:                              ;   in Loop: Header=BB10_527 Depth=2
	s_or_b64 exec, exec, s[40:41]
	v_and_b32_e32 v0, 0xffff0000, v3
	v_and_b32_e32 v2, 0xffff0000, v49
	v_pk_mul_f32 v[2:3], v[0:1], v[2:3] op_sel_hi:[0,1]
	v_and_b32_e32 v0, 0x7f800000, v2
	v_cmp_ne_u32_e32 vcc, s59, v0
                                        ; implicit-def: $vgpr49
	s_and_saveexec_b64 s[40:41], vcc
	s_xor_b64 vcc, exec, s[40:41]
; %bb.540:                              ;   in Loop: Header=BB10_527 Depth=2
	v_bfe_u32 v0, v2, 16, 1
	v_add3_u32 v49, v2, v0, s61
                                        ; implicit-def: $vgpr2_vgpr3
; %bb.541:                              ;   in Loop: Header=BB10_527 Depth=2
	s_andn2_saveexec_b64 s[40:41], vcc
; %bb.542:                              ;   in Loop: Header=BB10_527 Depth=2
	v_or_b32_e32 v0, 0x10000, v2
	v_cmp_eq_u32_sdwa vcc, v2, v59 src0_sel:WORD_0 src1_sel:DWORD
	s_nop 1
	v_cndmask_b32_e32 v49, v0, v2, vcc
; %bb.543:                              ;   in Loop: Header=BB10_527 Depth=2
	s_or_b64 exec, exec, s[40:41]
	v_lshlrev_b32_e32 v0, 16, v38
	v_lshlrev_b32_e32 v2, 16, v50
	v_pk_mul_f32 v[2:3], v[0:1], v[2:3] op_sel_hi:[0,1]
	v_and_b32_e32 v0, 0x7f800000, v2
	v_cmp_ne_u32_e32 vcc, s59, v0
                                        ; implicit-def: $vgpr0
	s_and_saveexec_b64 s[40:41], vcc
	s_xor_b64 vcc, exec, s[40:41]
; %bb.544:                              ;   in Loop: Header=BB10_527 Depth=2
	v_bfe_u32 v0, v2, 16, 1
	v_add3_u32 v0, v2, v0, s61
                                        ; implicit-def: $vgpr2_vgpr3
; %bb.545:                              ;   in Loop: Header=BB10_527 Depth=2
	s_andn2_saveexec_b64 s[40:41], vcc
; %bb.546:                              ;   in Loop: Header=BB10_527 Depth=2
	v_or_b32_e32 v0, 0x10000, v2
	v_cmp_eq_u32_sdwa vcc, v2, v59 src0_sel:WORD_0 src1_sel:DWORD
	s_nop 1
	v_cndmask_b32_e32 v0, v0, v2, vcc
; %bb.547:                              ;   in Loop: Header=BB10_527 Depth=2
	s_or_b64 exec, exec, s[40:41]
	v_and_b32_e32 v2, 0xffff0000, v38
	v_and_b32_e32 v4, 0xffff0000, v50
	v_pk_mul_f32 v[2:3], v[2:3], v[4:5] op_sel_hi:[0,1]
	v_and_b32_e32 v1, 0x7f800000, v2
	v_cmp_ne_u32_e32 vcc, s59, v1
                                        ; implicit-def: $vgpr1
	s_and_saveexec_b64 s[40:41], vcc
	s_xor_b64 vcc, exec, s[40:41]
; %bb.548:                              ;   in Loop: Header=BB10_527 Depth=2
	v_bfe_u32 v1, v2, 16, 1
	v_add3_u32 v1, v2, v1, s61
                                        ; implicit-def: $vgpr2_vgpr3
; %bb.549:                              ;   in Loop: Header=BB10_527 Depth=2
	s_andn2_saveexec_b64 s[40:41], vcc
; %bb.550:                              ;   in Loop: Header=BB10_527 Depth=2
	v_or_b32_e32 v1, 0x10000, v2
	v_cmp_eq_u32_sdwa vcc, v2, v59 src0_sel:WORD_0 src1_sel:DWORD
	s_nop 1
	v_cndmask_b32_e32 v1, v1, v2, vcc
; %bb.551:                              ;   in Loop: Header=BB10_527 Depth=2
	s_or_b64 exec, exec, s[40:41]
	v_mov_b32_e32 v3, v51
	v_lshlrev_b32_e32 v2, 16, v39
	v_lshlrev_b32_e32 v4, 16, v3
	v_pk_mul_f32 v[36:37], v[2:3], v[4:5] op_sel_hi:[0,1]
	v_and_b32_e32 v2, 0x7f800000, v36
	v_cmp_ne_u32_e32 vcc, s59, v2
                                        ; implicit-def: $vgpr38
	s_and_saveexec_b64 s[40:41], vcc
	s_xor_b64 vcc, exec, s[40:41]
; %bb.552:                              ;   in Loop: Header=BB10_527 Depth=2
	v_bfe_u32 v2, v36, 16, 1
	v_add3_u32 v38, v36, v2, s61
                                        ; implicit-def: $vgpr36_vgpr37
; %bb.553:                              ;   in Loop: Header=BB10_527 Depth=2
	s_andn2_saveexec_b64 s[40:41], vcc
; %bb.554:                              ;   in Loop: Header=BB10_527 Depth=2
	v_or_b32_e32 v2, 0x10000, v36
	v_cmp_eq_u32_sdwa vcc, v36, v59 src0_sel:WORD_0 src1_sel:DWORD
	s_nop 1
	v_cndmask_b32_e32 v38, v2, v36, vcc
; %bb.555:                              ;   in Loop: Header=BB10_527 Depth=2
	s_or_b64 exec, exec, s[40:41]
	v_and_b32_e32 v2, 0xffff0000, v39
	v_and_b32_e32 v4, 0xffff0000, v3
	v_pk_mul_f32 v[2:3], v[2:3], v[4:5] op_sel_hi:[0,1]
	v_and_b32_e32 v3, 0x7f800000, v2
	v_cmp_ne_u32_e32 vcc, s59, v3
                                        ; implicit-def: $vgpr36
	s_and_saveexec_b64 s[40:41], vcc
	s_xor_b64 vcc, exec, s[40:41]
; %bb.556:                              ;   in Loop: Header=BB10_527 Depth=2
	v_bfe_u32 v3, v2, 16, 1
	v_add3_u32 v36, v2, v3, s61
                                        ; implicit-def: $vgpr2_vgpr3
; %bb.557:                              ;   in Loop: Header=BB10_527 Depth=2
	s_andn2_saveexec_b64 s[40:41], vcc
; %bb.558:                              ;   in Loop: Header=BB10_527 Depth=2
	v_or_b32_e32 v3, 0x10000, v2
	v_cmp_eq_u32_sdwa vcc, v2, v59 src0_sel:WORD_0 src1_sel:DWORD
	s_nop 1
	v_cndmask_b32_e32 v36, v3, v2, vcc
; %bb.559:                              ;   in Loop: Header=BB10_527 Depth=2
	s_or_b64 exec, exec, s[40:41]
	s_waitcnt vmcnt(2)
	v_lshlrev_b32_e32 v2, 16, v26
	v_lshlrev_b32_e32 v4, 16, v32
	v_pk_mul_f32 v[2:3], v[2:3], v[4:5] op_sel_hi:[0,1]
	v_and_b32_e32 v3, 0x7f800000, v2
	v_cmp_ne_u32_e32 vcc, s59, v3
                                        ; implicit-def: $vgpr37
	s_and_saveexec_b64 s[40:41], vcc
	s_xor_b64 vcc, exec, s[40:41]
; %bb.560:                              ;   in Loop: Header=BB10_527 Depth=2
	v_bfe_u32 v3, v2, 16, 1
	v_add3_u32 v37, v2, v3, s61
                                        ; implicit-def: $vgpr2_vgpr3
; %bb.561:                              ;   in Loop: Header=BB10_527 Depth=2
	s_andn2_saveexec_b64 s[40:41], vcc
; %bb.562:                              ;   in Loop: Header=BB10_527 Depth=2
	v_or_b32_e32 v3, 0x10000, v2
	v_cmp_eq_u32_sdwa vcc, v2, v59 src0_sel:WORD_0 src1_sel:DWORD
	s_nop 1
	v_cndmask_b32_e32 v37, v3, v2, vcc
; %bb.563:                              ;   in Loop: Header=BB10_527 Depth=2
	s_or_b64 exec, exec, s[40:41]
	v_and_b32_e32 v2, 0xffff0000, v26
	v_and_b32_e32 v4, 0xffff0000, v32
	v_pk_mul_f32 v[2:3], v[2:3], v[4:5] op_sel_hi:[0,1]
	v_and_b32_e32 v3, 0x7f800000, v2
	v_cmp_ne_u32_e32 vcc, s59, v3
                                        ; implicit-def: $vgpr32
	s_and_saveexec_b64 s[40:41], vcc
	s_xor_b64 vcc, exec, s[40:41]
; %bb.564:                              ;   in Loop: Header=BB10_527 Depth=2
	v_bfe_u32 v3, v2, 16, 1
	v_add3_u32 v32, v2, v3, s61
                                        ; implicit-def: $vgpr2_vgpr3
; %bb.565:                              ;   in Loop: Header=BB10_527 Depth=2
	s_andn2_saveexec_b64 s[40:41], vcc
; %bb.566:                              ;   in Loop: Header=BB10_527 Depth=2
	v_or_b32_e32 v3, 0x10000, v2
	v_cmp_eq_u32_sdwa vcc, v2, v59 src0_sel:WORD_0 src1_sel:DWORD
	s_nop 1
	v_cndmask_b32_e32 v32, v3, v2, vcc
; %bb.567:                              ;   in Loop: Header=BB10_527 Depth=2
	s_or_b64 exec, exec, s[40:41]
	v_mov_b32_e32 v3, v27
	v_lshlrev_b32_e32 v2, 16, v3
	v_lshlrev_b32_e32 v4, 16, v33
	v_pk_mul_f32 v[26:27], v[2:3], v[4:5] op_sel_hi:[0,1]
	v_and_b32_e32 v2, 0x7f800000, v26
	v_cmp_ne_u32_e32 vcc, s59, v2
                                        ; implicit-def: $vgpr39
	s_and_saveexec_b64 s[40:41], vcc
	s_xor_b64 vcc, exec, s[40:41]
; %bb.568:                              ;   in Loop: Header=BB10_527 Depth=2
	v_bfe_u32 v2, v26, 16, 1
	v_add3_u32 v39, v26, v2, s61
                                        ; implicit-def: $vgpr26_vgpr27
; %bb.569:                              ;   in Loop: Header=BB10_527 Depth=2
	s_andn2_saveexec_b64 s[40:41], vcc
; %bb.570:                              ;   in Loop: Header=BB10_527 Depth=2
	v_or_b32_e32 v2, 0x10000, v26
	v_cmp_eq_u32_sdwa vcc, v26, v59 src0_sel:WORD_0 src1_sel:DWORD
	s_nop 1
	v_cndmask_b32_e32 v39, v2, v26, vcc
; %bb.571:                              ;   in Loop: Header=BB10_527 Depth=2
	s_or_b64 exec, exec, s[40:41]
	v_and_b32_e32 v2, 0xffff0000, v3
	v_and_b32_e32 v4, 0xffff0000, v33
	v_pk_mul_f32 v[2:3], v[2:3], v[4:5] op_sel_hi:[0,1]
	v_and_b32_e32 v3, 0x7f800000, v2
	v_cmp_ne_u32_e32 vcc, s59, v3
                                        ; implicit-def: $vgpr33
	s_and_saveexec_b64 s[40:41], vcc
	s_xor_b64 vcc, exec, s[40:41]
; %bb.572:                              ;   in Loop: Header=BB10_527 Depth=2
	v_bfe_u32 v3, v2, 16, 1
	v_add3_u32 v33, v2, v3, s61
                                        ; implicit-def: $vgpr2_vgpr3
; %bb.573:                              ;   in Loop: Header=BB10_527 Depth=2
	s_andn2_saveexec_b64 s[40:41], vcc
; %bb.574:                              ;   in Loop: Header=BB10_527 Depth=2
	v_or_b32_e32 v3, 0x10000, v2
	v_cmp_eq_u32_sdwa vcc, v2, v59 src0_sel:WORD_0 src1_sel:DWORD
	s_nop 1
	v_cndmask_b32_e32 v33, v3, v2, vcc
; %bb.575:                              ;   in Loop: Header=BB10_527 Depth=2
	s_or_b64 exec, exec, s[40:41]
	v_lshlrev_b32_e32 v2, 16, v28
	v_lshlrev_b32_e32 v4, 16, v34
	v_pk_mul_f32 v[2:3], v[2:3], v[4:5] op_sel_hi:[0,1]
	v_and_b32_e32 v3, 0x7f800000, v2
	v_cmp_ne_u32_e32 vcc, s59, v3
                                        ; implicit-def: $vgpr50
	s_and_saveexec_b64 s[40:41], vcc
	s_xor_b64 vcc, exec, s[40:41]
; %bb.576:                              ;   in Loop: Header=BB10_527 Depth=2
	v_bfe_u32 v3, v2, 16, 1
	v_add3_u32 v50, v2, v3, s61
                                        ; implicit-def: $vgpr2_vgpr3
; %bb.577:                              ;   in Loop: Header=BB10_527 Depth=2
	s_andn2_saveexec_b64 s[40:41], vcc
; %bb.578:                              ;   in Loop: Header=BB10_527 Depth=2
	v_or_b32_e32 v3, 0x10000, v2
	v_cmp_eq_u32_sdwa vcc, v2, v59 src0_sel:WORD_0 src1_sel:DWORD
	s_nop 1
	v_cndmask_b32_e32 v50, v3, v2, vcc
; %bb.579:                              ;   in Loop: Header=BB10_527 Depth=2
	s_or_b64 exec, exec, s[40:41]
	v_and_b32_e32 v2, 0xffff0000, v28
	v_and_b32_e32 v4, 0xffff0000, v34
	v_pk_mul_f32 v[2:3], v[2:3], v[4:5] op_sel_hi:[0,1]
	v_and_b32_e32 v3, 0x7f800000, v2
	v_cmp_ne_u32_e32 vcc, s59, v3
                                        ; implicit-def: $vgpr28
	s_and_saveexec_b64 s[40:41], vcc
	s_xor_b64 vcc, exec, s[40:41]
; %bb.580:                              ;   in Loop: Header=BB10_527 Depth=2
	v_bfe_u32 v3, v2, 16, 1
	v_add3_u32 v28, v2, v3, s61
                                        ; implicit-def: $vgpr2_vgpr3
; %bb.581:                              ;   in Loop: Header=BB10_527 Depth=2
	s_andn2_saveexec_b64 s[40:41], vcc
; %bb.582:                              ;   in Loop: Header=BB10_527 Depth=2
	v_or_b32_e32 v3, 0x10000, v2
	v_cmp_eq_u32_sdwa vcc, v2, v59 src0_sel:WORD_0 src1_sel:DWORD
	s_nop 1
	v_cndmask_b32_e32 v28, v3, v2, vcc
; %bb.583:                              ;   in Loop: Header=BB10_527 Depth=2
	s_or_b64 exec, exec, s[40:41]
	v_mov_b32_e32 v3, v35
	v_lshlrev_b32_e32 v2, 16, v29
	v_lshlrev_b32_e32 v4, 16, v3
	v_pk_mul_f32 v[26:27], v[2:3], v[4:5] op_sel_hi:[0,1]
	v_and_b32_e32 v2, 0x7f800000, v26
	v_cmp_ne_u32_e32 vcc, s59, v2
                                        ; implicit-def: $vgpr34
	s_and_saveexec_b64 s[40:41], vcc
	s_xor_b64 vcc, exec, s[40:41]
; %bb.584:                              ;   in Loop: Header=BB10_527 Depth=2
	v_bfe_u32 v2, v26, 16, 1
	v_add3_u32 v34, v26, v2, s61
                                        ; implicit-def: $vgpr26_vgpr27
; %bb.585:                              ;   in Loop: Header=BB10_527 Depth=2
	s_andn2_saveexec_b64 s[40:41], vcc
; %bb.586:                              ;   in Loop: Header=BB10_527 Depth=2
	v_or_b32_e32 v2, 0x10000, v26
	v_cmp_eq_u32_sdwa vcc, v26, v59 src0_sel:WORD_0 src1_sel:DWORD
	s_nop 1
	v_cndmask_b32_e32 v34, v2, v26, vcc
; %bb.587:                              ;   in Loop: Header=BB10_527 Depth=2
	s_or_b64 exec, exec, s[40:41]
	v_and_b32_e32 v2, 0xffff0000, v29
	v_and_b32_e32 v4, 0xffff0000, v3
	v_pk_mul_f32 v[2:3], v[2:3], v[4:5] op_sel_hi:[0,1]
	v_and_b32_e32 v3, 0x7f800000, v2
	v_cmp_ne_u32_e32 vcc, s59, v3
                                        ; implicit-def: $vgpr26
	s_and_saveexec_b64 s[40:41], vcc
	s_xor_b64 vcc, exec, s[40:41]
; %bb.588:                              ;   in Loop: Header=BB10_527 Depth=2
	v_bfe_u32 v3, v2, 16, 1
	v_add3_u32 v26, v2, v3, s61
                                        ; implicit-def: $vgpr2_vgpr3
; %bb.589:                              ;   in Loop: Header=BB10_527 Depth=2
	s_andn2_saveexec_b64 s[40:41], vcc
; %bb.590:                              ;   in Loop: Header=BB10_527 Depth=2
	v_or_b32_e32 v3, 0x10000, v2
	v_cmp_eq_u32_sdwa vcc, v2, v59 src0_sel:WORD_0 src1_sel:DWORD
	s_nop 1
	v_cndmask_b32_e32 v26, v3, v2, vcc
; %bb.591:                              ;   in Loop: Header=BB10_527 Depth=2
	s_or_b64 exec, exec, s[40:41]
	s_waitcnt vmcnt(1)
	v_lshlrev_b32_e32 v2, 16, v18
	v_lshlrev_b32_e32 v4, 16, v22
	v_pk_mul_f32 v[2:3], v[2:3], v[4:5] op_sel_hi:[0,1]
	v_and_b32_e32 v3, 0x7f800000, v2
	v_cmp_ne_u32_e32 vcc, s59, v3
                                        ; implicit-def: $vgpr27
	s_and_saveexec_b64 s[40:41], vcc
	s_xor_b64 vcc, exec, s[40:41]
; %bb.592:                              ;   in Loop: Header=BB10_527 Depth=2
	v_bfe_u32 v3, v2, 16, 1
	v_add3_u32 v27, v2, v3, s61
                                        ; implicit-def: $vgpr2_vgpr3
; %bb.593:                              ;   in Loop: Header=BB10_527 Depth=2
	s_andn2_saveexec_b64 s[40:41], vcc
; %bb.594:                              ;   in Loop: Header=BB10_527 Depth=2
	v_or_b32_e32 v3, 0x10000, v2
	v_cmp_eq_u32_sdwa vcc, v2, v59 src0_sel:WORD_0 src1_sel:DWORD
	s_nop 1
	v_cndmask_b32_e32 v27, v3, v2, vcc
; %bb.595:                              ;   in Loop: Header=BB10_527 Depth=2
	s_or_b64 exec, exec, s[40:41]
	v_and_b32_e32 v2, 0xffff0000, v18
	v_and_b32_e32 v4, 0xffff0000, v22
	v_pk_mul_f32 v[2:3], v[2:3], v[4:5] op_sel_hi:[0,1]
	v_and_b32_e32 v3, 0x7f800000, v2
	v_cmp_ne_u32_e32 vcc, s59, v3
                                        ; implicit-def: $vgpr22
	s_and_saveexec_b64 s[40:41], vcc
	s_xor_b64 vcc, exec, s[40:41]
; %bb.596:                              ;   in Loop: Header=BB10_527 Depth=2
	v_bfe_u32 v3, v2, 16, 1
	v_add3_u32 v22, v2, v3, s61
                                        ; implicit-def: $vgpr2_vgpr3
; %bb.597:                              ;   in Loop: Header=BB10_527 Depth=2
	s_andn2_saveexec_b64 s[40:41], vcc
; %bb.598:                              ;   in Loop: Header=BB10_527 Depth=2
	v_or_b32_e32 v3, 0x10000, v2
	v_cmp_eq_u32_sdwa vcc, v2, v59 src0_sel:WORD_0 src1_sel:DWORD
	s_nop 1
	v_cndmask_b32_e32 v22, v3, v2, vcc
; %bb.599:                              ;   in Loop: Header=BB10_527 Depth=2
	s_or_b64 exec, exec, s[40:41]
	v_mov_b32_e32 v3, v19
	v_lshlrev_b32_e32 v2, 16, v3
	v_lshlrev_b32_e32 v4, 16, v23
	v_pk_mul_f32 v[18:19], v[2:3], v[4:5] op_sel_hi:[0,1]
	v_and_b32_e32 v2, 0x7f800000, v18
	v_cmp_ne_u32_e32 vcc, s59, v2
                                        ; implicit-def: $vgpr29
	s_and_saveexec_b64 s[40:41], vcc
	s_xor_b64 vcc, exec, s[40:41]
; %bb.600:                              ;   in Loop: Header=BB10_527 Depth=2
	v_bfe_u32 v2, v18, 16, 1
	v_add3_u32 v29, v18, v2, s61
                                        ; implicit-def: $vgpr18_vgpr19
; %bb.601:                              ;   in Loop: Header=BB10_527 Depth=2
	s_andn2_saveexec_b64 s[40:41], vcc
; %bb.602:                              ;   in Loop: Header=BB10_527 Depth=2
	v_or_b32_e32 v2, 0x10000, v18
	v_cmp_eq_u32_sdwa vcc, v18, v59 src0_sel:WORD_0 src1_sel:DWORD
	s_nop 1
	v_cndmask_b32_e32 v29, v2, v18, vcc
; %bb.603:                              ;   in Loop: Header=BB10_527 Depth=2
	s_or_b64 exec, exec, s[40:41]
	v_and_b32_e32 v2, 0xffff0000, v3
	v_and_b32_e32 v4, 0xffff0000, v23
	v_pk_mul_f32 v[2:3], v[2:3], v[4:5] op_sel_hi:[0,1]
	v_and_b32_e32 v3, 0x7f800000, v2
	v_cmp_ne_u32_e32 vcc, s59, v3
                                        ; implicit-def: $vgpr23
	s_and_saveexec_b64 s[40:41], vcc
	s_xor_b64 vcc, exec, s[40:41]
; %bb.604:                              ;   in Loop: Header=BB10_527 Depth=2
	v_bfe_u32 v3, v2, 16, 1
	v_add3_u32 v23, v2, v3, s61
                                        ; implicit-def: $vgpr2_vgpr3
; %bb.605:                              ;   in Loop: Header=BB10_527 Depth=2
	s_andn2_saveexec_b64 s[40:41], vcc
; %bb.606:                              ;   in Loop: Header=BB10_527 Depth=2
	v_or_b32_e32 v3, 0x10000, v2
	v_cmp_eq_u32_sdwa vcc, v2, v59 src0_sel:WORD_0 src1_sel:DWORD
	s_nop 1
	v_cndmask_b32_e32 v23, v3, v2, vcc
; %bb.607:                              ;   in Loop: Header=BB10_527 Depth=2
	s_or_b64 exec, exec, s[40:41]
	v_lshlrev_b32_e32 v2, 16, v20
	v_lshlrev_b32_e32 v4, 16, v24
	v_pk_mul_f32 v[2:3], v[2:3], v[4:5] op_sel_hi:[0,1]
	v_and_b32_e32 v3, 0x7f800000, v2
	v_cmp_ne_u32_e32 vcc, s59, v3
                                        ; implicit-def: $vgpr35
	s_and_saveexec_b64 s[40:41], vcc
	s_xor_b64 vcc, exec, s[40:41]
; %bb.608:                              ;   in Loop: Header=BB10_527 Depth=2
	v_bfe_u32 v3, v2, 16, 1
	v_add3_u32 v35, v2, v3, s61
                                        ; implicit-def: $vgpr2_vgpr3
; %bb.609:                              ;   in Loop: Header=BB10_527 Depth=2
	s_andn2_saveexec_b64 s[40:41], vcc
; %bb.610:                              ;   in Loop: Header=BB10_527 Depth=2
	v_or_b32_e32 v3, 0x10000, v2
	v_cmp_eq_u32_sdwa vcc, v2, v59 src0_sel:WORD_0 src1_sel:DWORD
	s_nop 1
	v_cndmask_b32_e32 v35, v3, v2, vcc
; %bb.611:                              ;   in Loop: Header=BB10_527 Depth=2
	s_or_b64 exec, exec, s[40:41]
	v_and_b32_e32 v2, 0xffff0000, v20
	v_and_b32_e32 v4, 0xffff0000, v24
	v_pk_mul_f32 v[2:3], v[2:3], v[4:5] op_sel_hi:[0,1]
	v_and_b32_e32 v3, 0x7f800000, v2
	v_cmp_ne_u32_e32 vcc, s59, v3
                                        ; implicit-def: $vgpr20
	s_and_saveexec_b64 s[40:41], vcc
	s_xor_b64 vcc, exec, s[40:41]
; %bb.612:                              ;   in Loop: Header=BB10_527 Depth=2
	v_bfe_u32 v3, v2, 16, 1
	v_add3_u32 v20, v2, v3, s61
                                        ; implicit-def: $vgpr2_vgpr3
; %bb.613:                              ;   in Loop: Header=BB10_527 Depth=2
	s_andn2_saveexec_b64 s[40:41], vcc
; %bb.614:                              ;   in Loop: Header=BB10_527 Depth=2
	v_or_b32_e32 v3, 0x10000, v2
	v_cmp_eq_u32_sdwa vcc, v2, v59 src0_sel:WORD_0 src1_sel:DWORD
	s_nop 1
	v_cndmask_b32_e32 v20, v3, v2, vcc
; %bb.615:                              ;   in Loop: Header=BB10_527 Depth=2
	s_or_b64 exec, exec, s[40:41]
	v_mov_b32_e32 v3, v25
	v_lshlrev_b32_e32 v2, 16, v21
	v_lshlrev_b32_e32 v4, 16, v3
	v_pk_mul_f32 v[18:19], v[2:3], v[4:5] op_sel_hi:[0,1]
	v_and_b32_e32 v2, 0x7f800000, v18
	v_cmp_ne_u32_e32 vcc, s59, v2
                                        ; implicit-def: $vgpr24
	s_and_saveexec_b64 s[40:41], vcc
	s_xor_b64 vcc, exec, s[40:41]
; %bb.616:                              ;   in Loop: Header=BB10_527 Depth=2
	v_bfe_u32 v2, v18, 16, 1
	v_add3_u32 v24, v18, v2, s61
                                        ; implicit-def: $vgpr18_vgpr19
; %bb.617:                              ;   in Loop: Header=BB10_527 Depth=2
	s_andn2_saveexec_b64 s[40:41], vcc
; %bb.618:                              ;   in Loop: Header=BB10_527 Depth=2
	v_or_b32_e32 v2, 0x10000, v18
	v_cmp_eq_u32_sdwa vcc, v18, v59 src0_sel:WORD_0 src1_sel:DWORD
	s_nop 1
	v_cndmask_b32_e32 v24, v2, v18, vcc
; %bb.619:                              ;   in Loop: Header=BB10_527 Depth=2
	s_or_b64 exec, exec, s[40:41]
	v_and_b32_e32 v2, 0xffff0000, v21
	v_and_b32_e32 v4, 0xffff0000, v3
	v_pk_mul_f32 v[2:3], v[2:3], v[4:5] op_sel_hi:[0,1]
	v_and_b32_e32 v3, 0x7f800000, v2
	v_cmp_ne_u32_e32 vcc, s59, v3
                                        ; implicit-def: $vgpr18
	s_and_saveexec_b64 s[40:41], vcc
	s_xor_b64 vcc, exec, s[40:41]
; %bb.620:                              ;   in Loop: Header=BB10_527 Depth=2
	v_bfe_u32 v3, v2, 16, 1
	v_add3_u32 v18, v2, v3, s61
                                        ; implicit-def: $vgpr2_vgpr3
; %bb.621:                              ;   in Loop: Header=BB10_527 Depth=2
	s_andn2_saveexec_b64 s[40:41], vcc
; %bb.622:                              ;   in Loop: Header=BB10_527 Depth=2
	v_or_b32_e32 v3, 0x10000, v2
	v_cmp_eq_u32_sdwa vcc, v2, v59 src0_sel:WORD_0 src1_sel:DWORD
	s_nop 1
	v_cndmask_b32_e32 v18, v3, v2, vcc
; %bb.623:                              ;   in Loop: Header=BB10_527 Depth=2
	s_or_b64 exec, exec, s[40:41]
	s_waitcnt vmcnt(0)
	v_lshlrev_b32_e32 v2, 16, v10
	v_lshlrev_b32_e32 v4, 16, v14
	v_pk_mul_f32 v[2:3], v[2:3], v[4:5] op_sel_hi:[0,1]
	v_and_b32_e32 v3, 0x7f800000, v2
	v_cmp_ne_u32_e32 vcc, s59, v3
                                        ; implicit-def: $vgpr19
	s_and_saveexec_b64 s[40:41], vcc
	s_xor_b64 vcc, exec, s[40:41]
; %bb.624:                              ;   in Loop: Header=BB10_527 Depth=2
	v_bfe_u32 v3, v2, 16, 1
	v_add3_u32 v19, v2, v3, s61
                                        ; implicit-def: $vgpr2_vgpr3
; %bb.625:                              ;   in Loop: Header=BB10_527 Depth=2
	s_andn2_saveexec_b64 s[40:41], vcc
; %bb.626:                              ;   in Loop: Header=BB10_527 Depth=2
	v_or_b32_e32 v3, 0x10000, v2
	v_cmp_eq_u32_sdwa vcc, v2, v59 src0_sel:WORD_0 src1_sel:DWORD
	s_nop 1
	v_cndmask_b32_e32 v19, v3, v2, vcc
; %bb.627:                              ;   in Loop: Header=BB10_527 Depth=2
	s_or_b64 exec, exec, s[40:41]
	v_and_b32_e32 v2, 0xffff0000, v10
	v_and_b32_e32 v4, 0xffff0000, v14
	v_pk_mul_f32 v[2:3], v[2:3], v[4:5] op_sel_hi:[0,1]
	v_and_b32_e32 v3, 0x7f800000, v2
	v_cmp_ne_u32_e32 vcc, s59, v3
                                        ; implicit-def: $vgpr14
	s_and_saveexec_b64 s[40:41], vcc
	s_xor_b64 vcc, exec, s[40:41]
; %bb.628:                              ;   in Loop: Header=BB10_527 Depth=2
	v_bfe_u32 v3, v2, 16, 1
	v_add3_u32 v14, v2, v3, s61
                                        ; implicit-def: $vgpr2_vgpr3
; %bb.629:                              ;   in Loop: Header=BB10_527 Depth=2
	s_andn2_saveexec_b64 s[40:41], vcc
; %bb.630:                              ;   in Loop: Header=BB10_527 Depth=2
	v_or_b32_e32 v3, 0x10000, v2
	v_cmp_eq_u32_sdwa vcc, v2, v59 src0_sel:WORD_0 src1_sel:DWORD
	s_nop 1
	v_cndmask_b32_e32 v14, v3, v2, vcc
; %bb.631:                              ;   in Loop: Header=BB10_527 Depth=2
	s_or_b64 exec, exec, s[40:41]
	v_mov_b32_e32 v3, v11
	v_lshlrev_b32_e32 v2, 16, v3
	v_lshlrev_b32_e32 v4, 16, v15
	v_pk_mul_f32 v[10:11], v[2:3], v[4:5] op_sel_hi:[0,1]
	v_and_b32_e32 v2, 0x7f800000, v10
	v_cmp_ne_u32_e32 vcc, s59, v2
                                        ; implicit-def: $vgpr21
	s_and_saveexec_b64 s[40:41], vcc
	s_xor_b64 vcc, exec, s[40:41]
; %bb.632:                              ;   in Loop: Header=BB10_527 Depth=2
	v_bfe_u32 v2, v10, 16, 1
	v_add3_u32 v21, v10, v2, s61
                                        ; implicit-def: $vgpr10_vgpr11
; %bb.633:                              ;   in Loop: Header=BB10_527 Depth=2
	s_andn2_saveexec_b64 s[40:41], vcc
; %bb.634:                              ;   in Loop: Header=BB10_527 Depth=2
	v_or_b32_e32 v2, 0x10000, v10
	v_cmp_eq_u32_sdwa vcc, v10, v59 src0_sel:WORD_0 src1_sel:DWORD
	s_nop 1
	v_cndmask_b32_e32 v21, v2, v10, vcc
; %bb.635:                              ;   in Loop: Header=BB10_527 Depth=2
	s_or_b64 exec, exec, s[40:41]
	v_and_b32_e32 v2, 0xffff0000, v3
	v_and_b32_e32 v4, 0xffff0000, v15
	v_pk_mul_f32 v[2:3], v[2:3], v[4:5] op_sel_hi:[0,1]
	v_and_b32_e32 v3, 0x7f800000, v2
	v_cmp_ne_u32_e32 vcc, s59, v3
                                        ; implicit-def: $vgpr15
	s_and_saveexec_b64 s[40:41], vcc
	s_xor_b64 vcc, exec, s[40:41]
; %bb.636:                              ;   in Loop: Header=BB10_527 Depth=2
	v_bfe_u32 v3, v2, 16, 1
	v_add3_u32 v15, v2, v3, s61
                                        ; implicit-def: $vgpr2_vgpr3
; %bb.637:                              ;   in Loop: Header=BB10_527 Depth=2
	s_andn2_saveexec_b64 s[40:41], vcc
; %bb.638:                              ;   in Loop: Header=BB10_527 Depth=2
	v_or_b32_e32 v3, 0x10000, v2
	v_cmp_eq_u32_sdwa vcc, v2, v59 src0_sel:WORD_0 src1_sel:DWORD
	s_nop 1
	v_cndmask_b32_e32 v15, v3, v2, vcc
; %bb.639:                              ;   in Loop: Header=BB10_527 Depth=2
	s_or_b64 exec, exec, s[40:41]
	v_lshlrev_b32_e32 v2, 16, v12
	v_lshlrev_b32_e32 v4, 16, v16
	v_pk_mul_f32 v[2:3], v[2:3], v[4:5] op_sel_hi:[0,1]
	v_and_b32_e32 v3, 0x7f800000, v2
	v_cmp_ne_u32_e32 vcc, s59, v3
                                        ; implicit-def: $vgpr25
	s_and_saveexec_b64 s[40:41], vcc
	s_xor_b64 vcc, exec, s[40:41]
; %bb.640:                              ;   in Loop: Header=BB10_527 Depth=2
	v_bfe_u32 v3, v2, 16, 1
	v_add3_u32 v25, v2, v3, s61
                                        ; implicit-def: $vgpr2_vgpr3
; %bb.641:                              ;   in Loop: Header=BB10_527 Depth=2
	s_andn2_saveexec_b64 s[40:41], vcc
; %bb.642:                              ;   in Loop: Header=BB10_527 Depth=2
	v_or_b32_e32 v3, 0x10000, v2
	v_cmp_eq_u32_sdwa vcc, v2, v59 src0_sel:WORD_0 src1_sel:DWORD
	s_nop 1
	v_cndmask_b32_e32 v25, v3, v2, vcc
; %bb.643:                              ;   in Loop: Header=BB10_527 Depth=2
	s_or_b64 exec, exec, s[40:41]
	v_and_b32_e32 v2, 0xffff0000, v12
	v_and_b32_e32 v4, 0xffff0000, v16
	v_pk_mul_f32 v[2:3], v[2:3], v[4:5] op_sel_hi:[0,1]
	v_and_b32_e32 v3, 0x7f800000, v2
	v_cmp_ne_u32_e32 vcc, s59, v3
                                        ; implicit-def: $vgpr12
	s_and_saveexec_b64 s[40:41], vcc
	s_xor_b64 vcc, exec, s[40:41]
; %bb.644:                              ;   in Loop: Header=BB10_527 Depth=2
	v_bfe_u32 v3, v2, 16, 1
	v_add3_u32 v12, v2, v3, s61
                                        ; implicit-def: $vgpr2_vgpr3
; %bb.645:                              ;   in Loop: Header=BB10_527 Depth=2
	s_andn2_saveexec_b64 s[40:41], vcc
; %bb.646:                              ;   in Loop: Header=BB10_527 Depth=2
	v_or_b32_e32 v3, 0x10000, v2
	v_cmp_eq_u32_sdwa vcc, v2, v59 src0_sel:WORD_0 src1_sel:DWORD
	s_nop 1
	v_cndmask_b32_e32 v12, v3, v2, vcc
; %bb.647:                              ;   in Loop: Header=BB10_527 Depth=2
	s_or_b64 exec, exec, s[40:41]
	v_mov_b32_e32 v3, v17
	v_lshlrev_b32_e32 v2, 16, v13
	v_lshlrev_b32_e32 v4, 16, v3
	v_pk_mul_f32 v[10:11], v[2:3], v[4:5] op_sel_hi:[0,1]
	v_and_b32_e32 v2, 0x7f800000, v10
	v_cmp_ne_u32_e32 vcc, s59, v2
                                        ; implicit-def: $vgpr16
	s_and_saveexec_b64 s[40:41], vcc
	s_xor_b64 vcc, exec, s[40:41]
; %bb.648:                              ;   in Loop: Header=BB10_527 Depth=2
	v_bfe_u32 v2, v10, 16, 1
	v_add3_u32 v16, v10, v2, s61
                                        ; implicit-def: $vgpr10_vgpr11
; %bb.649:                              ;   in Loop: Header=BB10_527 Depth=2
	s_andn2_saveexec_b64 s[40:41], vcc
; %bb.650:                              ;   in Loop: Header=BB10_527 Depth=2
	v_or_b32_e32 v2, 0x10000, v10
	v_cmp_eq_u32_sdwa vcc, v10, v59 src0_sel:WORD_0 src1_sel:DWORD
	s_nop 1
	v_cndmask_b32_e32 v16, v2, v10, vcc
; %bb.651:                              ;   in Loop: Header=BB10_527 Depth=2
	s_or_b64 exec, exec, s[40:41]
	v_and_b32_e32 v2, 0xffff0000, v13
	v_and_b32_e32 v4, 0xffff0000, v3
	v_pk_mul_f32 v[2:3], v[2:3], v[4:5] op_sel_hi:[0,1]
	v_and_b32_e32 v3, 0x7f800000, v2
	v_cmp_ne_u32_e32 vcc, s59, v3
                                        ; implicit-def: $vgpr10
	s_and_saveexec_b64 s[40:41], vcc
	s_xor_b64 vcc, exec, s[40:41]
; %bb.652:                              ;   in Loop: Header=BB10_527 Depth=2
	v_bfe_u32 v3, v2, 16, 1
	v_add3_u32 v10, v2, v3, s61
                                        ; implicit-def: $vgpr2_vgpr3
; %bb.653:                              ;   in Loop: Header=BB10_527 Depth=2
	s_andn2_saveexec_b64 s[40:41], vcc
	s_cbranch_execz .LBB10_526
; %bb.654:                              ;   in Loop: Header=BB10_527 Depth=2
	v_or_b32_e32 v3, 0x10000, v2
	v_cmp_eq_u32_sdwa vcc, v2, v59 src0_sel:WORD_0 src1_sel:DWORD
	s_nop 1
	v_cndmask_b32_e32 v10, v3, v2, vcc
	s_branch .LBB10_526
.LBB10_655:                             ;   in Loop: Header=BB10_454 Depth=1
	s_or_b64 exec, exec, s[38:39]
	v_accvgpr_read_b32 v55, a3
	v_accvgpr_read_b32 v53, a13
	;; [unrolled: 1-line block ×19, first 2 shown]
.LBB10_656:                             ;   in Loop: Header=BB10_454 Depth=1
	s_or_b64 exec, exec, s[14:15]
	v_lshlrev_b32_e32 v24, 12, v0
	v_cmp_ne_u32_e32 vcc, v5, v24
	s_mov_b64 s[40:41], 0
	v_mov_b32_e32 v0, 0
                                        ; implicit-def: $vgpr1
                                        ; implicit-def: $vgpr2
	s_and_saveexec_b64 s[38:39], vcc
	s_cbranch_execz .LBB10_696
; %bb.657:                              ;   in Loop: Header=BB10_454 Depth=1
	v_lshlrev_b32_e32 v0, 6, v30
	v_accvgpr_read_b32 v1, a17
	v_sub_u32_e32 v0, v1, v0
	v_sub_u32_e32 v2, v5, v24
	v_ashrrev_i32_e32 v1, 31, v0
	v_lshrrev_b32_e32 v1, 26, v1
	v_ashrrev_i32_e32 v4, 31, v2
	v_add_u32_e32 v1, v0, v1
	v_lshrrev_b32_e32 v4, 22, v4
	v_ashrrev_i32_e32 v3, 6, v1
	v_and_b32_e32 v1, 0xffffffc0, v1
	v_add_u32_e32 v4, v2, v4
	v_sub_u32_e32 v25, v0, v1
	v_and_b32_e32 v26, 0xfffffc00, v4
	v_lshlrev_b32_e32 v0, 4, v25
	v_sub_u32_e32 v28, v2, v26
	v_mov_b32_e32 v49, v5
	v_lshl_add_u32 v1, v3, 10, v0
	v_ashrrev_i32_e32 v5, 10, v4
	v_cmp_lt_i32_e32 vcc, 15, v28
	v_sub_u32_e32 v0, v2, v1
	s_nop 0
	v_addc_co_u32_e64 v2, s[14:15], 0, v5, vcc
	v_sub_u32_e32 v27, v2, v3
	v_cmp_lt_i32_e64 s[14:15], 15, v0
	s_and_saveexec_b64 s[40:41], s[14:15]
	s_cbranch_execz .LBB10_693
; %bb.658:                              ;   in Loop: Header=BB10_454 Depth=1
	s_trap 2
	ds_read_b128 v[2:5], v0
	ds_read_b64 v[6:7], v0
	v_add_u32_e32 v8, v1, v24
	v_ashrrev_i32_e32 v9, 31, v8
	s_mov_b64 s[42:43], 0
	s_waitcnt lgkmcnt(0)
	v_lshl_add_u64 v[18:19], v[2:3], 0, v[8:9]
	s_waitcnt lgkmcnt(0)
	v_lshl_add_u64 v[22:23], v[6:7], 0, v[8:9]
	v_accvgpr_read_b32 v6, a24
	v_lshl_add_u64 v[20:21], v[4:5], 0, v[8:9]
	v_accvgpr_read_b32 v7, a25
	s_branch .LBB10_660
.LBB10_659:                             ;   in Loop: Header=BB10_660 Depth=2
	s_or_b64 exec, exec, s[44:45]
	v_lshrrev_b32_e32 v2, 16, v29
	v_lshrrev_b32_e32 v1, 16, v1
	v_and_or_b32 v3, v15, s62, v2
	v_and_or_b32 v2, v14, s62, v1
	v_lshrrev_b32_e32 v1, 16, v30
	v_and_or_b32 v4, v12, s62, v1
	v_lshrrev_b32_e32 v1, 16, v16
	v_sub_u32_e32 v0, v0, v32
	v_and_or_b32 v5, v10, s62, v1
	v_cmp_gt_i32_e64 s[14:15], 16, v0
	global_store_dwordx4 v[22:23], v[2:5], off nt
	v_lshl_add_u64 v[18:19], v[18:19], 0, v[36:37]
	v_lshl_add_u64 v[20:21], v[20:21], 0, v[36:37]
	;; [unrolled: 1-line block ×3, first 2 shown]
	s_or_b64 s[42:43], s[14:15], s[42:43]
	v_sub_u32_e32 v27, v27, v6
	s_andn2_b64 exec, exec, s[42:43]
	s_cbranch_execz .LBB10_692
.LBB10_660:                             ;   Parent Loop BB10_454 Depth=1
                                        ; =>  This Inner Loop Header: Depth=2
	global_load_dwordx4 v[10:13], v[20:21], off nt
	global_load_dwordx4 v[14:17], v[18:19], off nt
	s_waitcnt vmcnt(0)
	v_lshlrev_b32_e32 v2, 16, v10
	s_waitcnt vmcnt(0)
	v_lshlrev_b32_e32 v4, 16, v14
	v_pk_mul_f32 v[2:3], v[2:3], v[4:5] op_sel_hi:[0,1]
	v_and_b32_e32 v1, 0x7f800000, v2
	v_cmp_ne_u32_e64 s[14:15], s59, v1
                                        ; implicit-def: $vgpr1
	s_and_saveexec_b64 s[44:45], s[14:15]
	s_xor_b64 s[14:15], exec, s[44:45]
; %bb.661:                              ;   in Loop: Header=BB10_660 Depth=2
	v_bfe_u32 v1, v2, 16, 1
	v_add3_u32 v1, v2, v1, s61
                                        ; implicit-def: $vgpr2_vgpr3
; %bb.662:                              ;   in Loop: Header=BB10_660 Depth=2
	s_andn2_saveexec_b64 s[44:45], s[14:15]
; %bb.663:                              ;   in Loop: Header=BB10_660 Depth=2
	v_or_b32_e32 v1, 0x10000, v2
	v_cmp_eq_u32_sdwa s[14:15], v2, v59 src0_sel:WORD_0 src1_sel:DWORD
	s_nop 1
	v_cndmask_b32_e64 v1, v1, v2, s[14:15]
; %bb.664:                              ;   in Loop: Header=BB10_660 Depth=2
	s_or_b64 exec, exec, s[44:45]
	v_and_b32_e32 v2, 0xffff0000, v10
	v_and_b32_e32 v4, 0xffff0000, v14
	v_pk_mul_f32 v[2:3], v[2:3], v[4:5] op_sel_hi:[0,1]
	v_and_b32_e32 v3, 0x7f800000, v2
	v_cmp_ne_u32_e64 s[14:15], s59, v3
                                        ; implicit-def: $vgpr14
	s_and_saveexec_b64 s[44:45], s[14:15]
	s_xor_b64 s[14:15], exec, s[44:45]
; %bb.665:                              ;   in Loop: Header=BB10_660 Depth=2
	v_bfe_u32 v3, v2, 16, 1
	v_add3_u32 v14, v2, v3, s61
                                        ; implicit-def: $vgpr2_vgpr3
; %bb.666:                              ;   in Loop: Header=BB10_660 Depth=2
	s_andn2_saveexec_b64 s[44:45], s[14:15]
; %bb.667:                              ;   in Loop: Header=BB10_660 Depth=2
	v_or_b32_e32 v3, 0x10000, v2
	v_cmp_eq_u32_sdwa s[14:15], v2, v59 src0_sel:WORD_0 src1_sel:DWORD
	s_nop 1
	v_cndmask_b32_e64 v14, v3, v2, s[14:15]
; %bb.668:                              ;   in Loop: Header=BB10_660 Depth=2
	s_or_b64 exec, exec, s[44:45]
	v_mov_b32_e32 v3, v11
	v_lshlrev_b32_e32 v2, 16, v3
	v_lshlrev_b32_e32 v4, 16, v15
	v_pk_mul_f32 v[10:11], v[2:3], v[4:5] op_sel_hi:[0,1]
	v_and_b32_e32 v2, 0x7f800000, v10
	v_cmp_ne_u32_e64 s[14:15], s59, v2
                                        ; implicit-def: $vgpr29
	s_and_saveexec_b64 s[44:45], s[14:15]
	s_xor_b64 s[14:15], exec, s[44:45]
; %bb.669:                              ;   in Loop: Header=BB10_660 Depth=2
	v_bfe_u32 v2, v10, 16, 1
	v_add3_u32 v29, v10, v2, s61
                                        ; implicit-def: $vgpr10_vgpr11
; %bb.670:                              ;   in Loop: Header=BB10_660 Depth=2
	s_andn2_saveexec_b64 s[44:45], s[14:15]
; %bb.671:                              ;   in Loop: Header=BB10_660 Depth=2
	v_or_b32_e32 v2, 0x10000, v10
	v_cmp_eq_u32_sdwa s[14:15], v10, v59 src0_sel:WORD_0 src1_sel:DWORD
	s_nop 1
	v_cndmask_b32_e64 v29, v2, v10, s[14:15]
; %bb.672:                              ;   in Loop: Header=BB10_660 Depth=2
	s_or_b64 exec, exec, s[44:45]
	v_and_b32_e32 v2, 0xffff0000, v3
	v_and_b32_e32 v4, 0xffff0000, v15
	v_pk_mul_f32 v[2:3], v[2:3], v[4:5] op_sel_hi:[0,1]
	v_and_b32_e32 v3, 0x7f800000, v2
	v_cmp_ne_u32_e64 s[14:15], s59, v3
                                        ; implicit-def: $vgpr15
	s_and_saveexec_b64 s[44:45], s[14:15]
	s_xor_b64 s[14:15], exec, s[44:45]
; %bb.673:                              ;   in Loop: Header=BB10_660 Depth=2
	v_bfe_u32 v3, v2, 16, 1
	v_add3_u32 v15, v2, v3, s61
                                        ; implicit-def: $vgpr2_vgpr3
; %bb.674:                              ;   in Loop: Header=BB10_660 Depth=2
	s_andn2_saveexec_b64 s[44:45], s[14:15]
; %bb.675:                              ;   in Loop: Header=BB10_660 Depth=2
	v_or_b32_e32 v3, 0x10000, v2
	v_cmp_eq_u32_sdwa s[14:15], v2, v59 src0_sel:WORD_0 src1_sel:DWORD
	s_nop 1
	v_cndmask_b32_e64 v15, v3, v2, s[14:15]
; %bb.676:                              ;   in Loop: Header=BB10_660 Depth=2
	s_or_b64 exec, exec, s[44:45]
	v_lshlrev_b32_e32 v2, 16, v12
	v_lshlrev_b32_e32 v4, 16, v16
	v_pk_mul_f32 v[2:3], v[2:3], v[4:5] op_sel_hi:[0,1]
	v_and_b32_e32 v3, 0x7f800000, v2
	v_cmp_ne_u32_e64 s[14:15], s59, v3
                                        ; implicit-def: $vgpr30
	s_and_saveexec_b64 s[44:45], s[14:15]
	s_xor_b64 s[14:15], exec, s[44:45]
; %bb.677:                              ;   in Loop: Header=BB10_660 Depth=2
	v_bfe_u32 v3, v2, 16, 1
	v_add3_u32 v30, v2, v3, s61
                                        ; implicit-def: $vgpr2_vgpr3
; %bb.678:                              ;   in Loop: Header=BB10_660 Depth=2
	s_andn2_saveexec_b64 s[44:45], s[14:15]
; %bb.679:                              ;   in Loop: Header=BB10_660 Depth=2
	v_or_b32_e32 v3, 0x10000, v2
	v_cmp_eq_u32_sdwa s[14:15], v2, v59 src0_sel:WORD_0 src1_sel:DWORD
	s_nop 1
	v_cndmask_b32_e64 v30, v3, v2, s[14:15]
; %bb.680:                              ;   in Loop: Header=BB10_660 Depth=2
	s_or_b64 exec, exec, s[44:45]
	v_and_b32_e32 v2, 0xffff0000, v12
	v_and_b32_e32 v4, 0xffff0000, v16
	v_pk_mul_f32 v[2:3], v[2:3], v[4:5] op_sel_hi:[0,1]
	v_and_b32_e32 v3, 0x7f800000, v2
	v_cmp_ne_u32_e64 s[14:15], s59, v3
                                        ; implicit-def: $vgpr12
	s_and_saveexec_b64 s[44:45], s[14:15]
	s_xor_b64 s[14:15], exec, s[44:45]
; %bb.681:                              ;   in Loop: Header=BB10_660 Depth=2
	v_bfe_u32 v3, v2, 16, 1
	v_add3_u32 v12, v2, v3, s61
                                        ; implicit-def: $vgpr2_vgpr3
; %bb.682:                              ;   in Loop: Header=BB10_660 Depth=2
	s_andn2_saveexec_b64 s[44:45], s[14:15]
; %bb.683:                              ;   in Loop: Header=BB10_660 Depth=2
	v_or_b32_e32 v3, 0x10000, v2
	v_cmp_eq_u32_sdwa s[14:15], v2, v59 src0_sel:WORD_0 src1_sel:DWORD
	s_nop 1
	v_cndmask_b32_e64 v12, v3, v2, s[14:15]
; %bb.684:                              ;   in Loop: Header=BB10_660 Depth=2
	s_or_b64 exec, exec, s[44:45]
	v_mov_b32_e32 v3, v17
	v_lshlrev_b32_e32 v2, 16, v13
	v_lshlrev_b32_e32 v4, 16, v3
	v_pk_mul_f32 v[10:11], v[2:3], v[4:5] op_sel_hi:[0,1]
	v_and_b32_e32 v2, 0x7f800000, v10
	v_cmp_ne_u32_e64 s[14:15], s59, v2
                                        ; implicit-def: $vgpr16
	s_and_saveexec_b64 s[44:45], s[14:15]
	s_xor_b64 s[14:15], exec, s[44:45]
; %bb.685:                              ;   in Loop: Header=BB10_660 Depth=2
	v_bfe_u32 v2, v10, 16, 1
	v_add3_u32 v16, v10, v2, s61
                                        ; implicit-def: $vgpr10_vgpr11
; %bb.686:                              ;   in Loop: Header=BB10_660 Depth=2
	s_andn2_saveexec_b64 s[44:45], s[14:15]
; %bb.687:                              ;   in Loop: Header=BB10_660 Depth=2
	v_or_b32_e32 v2, 0x10000, v10
	v_cmp_eq_u32_sdwa s[14:15], v10, v59 src0_sel:WORD_0 src1_sel:DWORD
	s_nop 1
	v_cndmask_b32_e64 v16, v2, v10, s[14:15]
; %bb.688:                              ;   in Loop: Header=BB10_660 Depth=2
	s_or_b64 exec, exec, s[44:45]
	v_and_b32_e32 v2, 0xffff0000, v13
	v_and_b32_e32 v4, 0xffff0000, v3
	v_pk_mul_f32 v[2:3], v[2:3], v[4:5] op_sel_hi:[0,1]
	v_and_b32_e32 v3, 0x7f800000, v2
	v_cmp_ne_u32_e64 s[14:15], s59, v3
                                        ; implicit-def: $vgpr10
	s_and_saveexec_b64 s[44:45], s[14:15]
	s_xor_b64 s[14:15], exec, s[44:45]
; %bb.689:                              ;   in Loop: Header=BB10_660 Depth=2
	v_bfe_u32 v3, v2, 16, 1
	v_add3_u32 v10, v2, v3, s61
                                        ; implicit-def: $vgpr2_vgpr3
; %bb.690:                              ;   in Loop: Header=BB10_660 Depth=2
	s_andn2_saveexec_b64 s[44:45], s[14:15]
	s_cbranch_execz .LBB10_659
; %bb.691:                              ;   in Loop: Header=BB10_660 Depth=2
	v_or_b32_e32 v3, 0x10000, v2
	v_cmp_eq_u32_sdwa s[14:15], v2, v59 src0_sel:WORD_0 src1_sel:DWORD
	s_nop 1
	v_cndmask_b32_e64 v10, v3, v2, s[14:15]
	s_branch .LBB10_659
.LBB10_692:                             ;   in Loop: Header=BB10_454 Depth=1
	s_or_b64 exec, exec, s[42:43]
.LBB10_693:                             ;   in Loop: Header=BB10_454 Depth=1
	s_or_b64 exec, exec, s[40:41]
	v_and_b32_e32 v3, 14, v49
	v_cndmask_b32_e32 v5, v28, v3, vcc
	v_cmp_ne_u32_e64 s[14:15], 0, v5
	s_mov_b64 s[40:41], 0
	v_mov_b32_e32 v0, 0
                                        ; implicit-def: $vgpr1
                                        ; implicit-def: $vgpr2
	s_and_saveexec_b64 s[42:43], s[14:15]
	s_cbranch_execz .LBB10_695
; %bb.694:                              ;   in Loop: Header=BB10_454 Depth=1
	v_sub_u32_e32 v0, v28, v3
	v_cndmask_b32_e32 v0, 0, v0, vcc
	v_cmp_lt_i32_e32 vcc, 0, v27
	s_mov_b64 s[40:41], exec
	v_add3_u32 v0, v26, v24, v0
	v_cndmask_b32_e32 v1, 0, v6, vcc
	v_sub_u32_e32 v1, v1, v27
	v_lshl_add_u32 v1, v1, 6, v25
	v_ashrrev_i32_e32 v2, 31, v1
	v_lshrrev_b32_e32 v2, 26, v2
	v_add_u32_e32 v2, v1, v2
	v_ashrrev_i32_e32 v2, 6, v2
.LBB10_695:                             ;   in Loop: Header=BB10_454 Depth=1
	s_or_b64 exec, exec, s[42:43]
	s_and_b64 s[40:41], s[40:41], exec
.LBB10_696:                             ;   in Loop: Header=BB10_454 Depth=1
	s_or_b64 exec, exec, s[38:39]
	s_and_saveexec_b64 s[14:15], s[40:41]
	s_cbranch_execz .LBB10_773
.LBB10_697:                             ;   in Loop: Header=BB10_454 Depth=1
	v_ashrrev_i32_e32 v3, 31, v5
	v_lshrrev_b32_e32 v3, 21, v3
	v_add_u32_e32 v3, v5, v3
	v_ashrrev_i32_e32 v18, 11, v3
	v_sub_u32_e32 v16, v18, v2
	v_ashrrev_i32_e32 v3, 31, v1
	v_cmp_lt_i32_e32 vcc, 0, v16
	v_lshrrev_b32_e32 v17, 26, v3
	s_and_saveexec_b64 s[38:39], vcc
	s_cbranch_execz .LBB10_765
; %bb.698:                              ;   in Loop: Header=BB10_454 Depth=1
	v_add_u32_e32 v3, v1, v17
	v_and_b32_e32 v3, 0x7fffffc0, v3
	v_sub_u32_e32 v3, v1, v3
	v_accvgpr_write_b32 a38, v5
	s_trap 2
	v_lshlrev_b32_e32 v8, 1, v3
	ds_read_b128 v[4:7], v0
	v_lshlrev_b32_e32 v9, 11, v2
	ds_read_b64 v[2:3], v0
	v_add3_u32 v8, v8, v0, v9
	v_ashrrev_i32_e32 v9, 31, v8
	v_accvgpr_write_b32 a10, v50
	s_waitcnt lgkmcnt(0)
	v_lshl_add_u64 v[12:13], v[6:7], 0, v[8:9]
	v_accvgpr_read_b32 v6, a24
	s_waitcnt lgkmcnt(0)
	v_lshl_add_u64 v[2:3], v[2:3], 0, s[30:31]
	v_accvgpr_write_b32 a37, v35
	v_accvgpr_write_b32 a1, v34
	;; [unrolled: 1-line block ×6, first 2 shown]
	v_lshl_add_u64 v[10:11], v[4:5], 0, v[8:9]
	v_accvgpr_read_b32 v7, a25
	v_lshl_add_u64 v[14:15], v[2:3], 0, v[8:9]
	s_mov_b64 s[40:41], 0
	s_branch .LBB10_700
.LBB10_699:                             ;   in Loop: Header=BB10_700 Depth=2
	s_or_b64 exec, exec, s[42:43]
	v_add_co_u32_e32 v2, vcc, 0xfffff880, v14
	v_sub_u32_e32 v16, v16, v6
	s_nop 0
	v_addc_co_u32_e32 v3, vcc, -1, v15, vcc
	flat_store_short_d16_hi v[2:3], v20 nt
	v_add_co_u32_e32 v2, vcc, 0xfffff900, v14
	v_lshl_add_u64 v[10:11], v[10:11], 0, v[44:45]
	s_nop 0
	v_addc_co_u32_e32 v3, vcc, -1, v15, vcc
	flat_store_short_d16_hi v[2:3], v22 nt
	v_add_co_u32_e32 v2, vcc, 0xfffff980, v14
	v_lshl_add_u64 v[12:13], v[12:13], 0, v[44:45]
	s_nop 0
	v_addc_co_u32_e32 v3, vcc, -1, v15, vcc
	flat_store_short_d16_hi v[2:3], v24 nt
	v_add_co_u32_e32 v2, vcc, 0xfffffa00, v14
	s_nop 1
	v_addc_co_u32_e32 v3, vcc, -1, v15, vcc
	flat_store_short_d16_hi v[2:3], v27 nt
	v_add_co_u32_e32 v2, vcc, 0xfffffa80, v14
	s_nop 1
	v_addc_co_u32_e32 v3, vcc, -1, v15, vcc
	flat_store_short_d16_hi v[2:3], v30 nt
	v_add_co_u32_e32 v2, vcc, 0xfffffb00, v14
	s_nop 1
	v_addc_co_u32_e32 v3, vcc, -1, v15, vcc
	flat_store_short_d16_hi v[2:3], v34 nt
	v_add_co_u32_e32 v2, vcc, 0xfffffb80, v14
	s_nop 1
	v_addc_co_u32_e32 v3, vcc, -1, v15, vcc
	flat_store_short_d16_hi v[2:3], v37 nt
	v_add_co_u32_e32 v2, vcc, s57, v14
	s_nop 1
	v_addc_co_u32_e32 v3, vcc, -1, v15, vcc
	flat_store_short_d16_hi v[2:3], v39 nt
	v_add_co_u32_e32 v2, vcc, 0xfffffc80, v14
	s_nop 1
	v_addc_co_u32_e32 v3, vcc, -1, v15, vcc
	flat_store_short_d16_hi v[2:3], v49 nt
	v_add_co_u32_e32 v2, vcc, 0xfffffd00, v14
	s_nop 1
	v_addc_co_u32_e32 v3, vcc, -1, v15, vcc
	flat_store_short_d16_hi v[2:3], v48 nt
	v_add_co_u32_e32 v2, vcc, 0xfffffd80, v14
	s_nop 1
	v_addc_co_u32_e32 v3, vcc, -1, v15, vcc
	flat_store_short_d16_hi v[2:3], v36 nt
	v_add_co_u32_e32 v2, vcc, 0xfffffe00, v14
	s_nop 1
	v_addc_co_u32_e32 v3, vcc, -1, v15, vcc
	flat_store_short_d16_hi v[2:3], v33 nt
	v_add_co_u32_e32 v2, vcc, 0xfffffe80, v14
	s_nop 1
	v_addc_co_u32_e32 v3, vcc, -1, v15, vcc
	flat_store_short_d16_hi v[2:3], v29 nt
	v_add_co_u32_e32 v2, vcc, 0xffffff00, v14
	s_nop 1
	v_addc_co_u32_e32 v3, vcc, -1, v15, vcc
	flat_store_short_d16_hi v[2:3], v26 nt
	v_add_co_u32_e32 v2, vcc, 0xffffff80, v14
	s_nop 1
	v_addc_co_u32_e32 v3, vcc, -1, v15, vcc
	v_cmp_gt_i32_e32 vcc, 1, v16
	flat_store_short_d16_hi v[2:3], v23 nt
	flat_store_short_d16_hi v[14:15], v19 nt
	s_or_b64 s[40:41], vcc, s[40:41]
	v_lshl_add_u64 v[14:15], v[14:15], 0, v[44:45]
	s_andn2_b64 exec, exec, s[40:41]
	s_cbranch_execz .LBB10_764
.LBB10_700:                             ;   Parent Loop BB10_454 Depth=1
                                        ; =>  This Inner Loop Header: Depth=2
	flat_load_ushort v24, v[10:11] offset:256 nt
	flat_load_ushort v27, v[10:11] offset:384 nt
	;; [unrolled: 1-line block ×21, first 2 shown]
	flat_load_ushort v3, v[10:11] nt
	flat_load_ushort v56, v[12:13] offset:128 nt
	flat_load_ushort v2, v[12:13] nt
	flat_load_ushort v51, v[12:13] offset:1024 nt
	flat_load_ushort v50, v[12:13] offset:1152 nt
	;; [unrolled: 1-line block ×8, first 2 shown]
                                        ; implicit-def: $vgpr20
	s_waitcnt vmcnt(0) lgkmcnt(0)
	v_lshlrev_b32_e32 v4, 16, v3
	v_lshlrev_b32_e32 v2, 16, v2
	v_pk_mul_f32 v[2:3], v[2:3], v[4:5] op_sel_hi:[0,1]
	v_and_b32_e32 v3, 0x7f800000, v2
	v_cmp_ne_u32_e32 vcc, s59, v3
	s_and_saveexec_b64 s[42:43], vcc
	s_xor_b64 vcc, exec, s[42:43]
; %bb.701:                              ;   in Loop: Header=BB10_700 Depth=2
	v_bfe_u32 v3, v2, 16, 1
	v_add3_u32 v20, v2, v3, s61
                                        ; implicit-def: $vgpr2_vgpr3
; %bb.702:                              ;   in Loop: Header=BB10_700 Depth=2
	s_andn2_saveexec_b64 s[42:43], vcc
; %bb.703:                              ;   in Loop: Header=BB10_700 Depth=2
	v_or_b32_e32 v3, 0x10000, v2
	v_cmp_eq_u32_sdwa vcc, v2, v59 src0_sel:WORD_0 src1_sel:DWORD
	s_nop 1
	v_cndmask_b32_e32 v20, v3, v2, vcc
; %bb.704:                              ;   in Loop: Header=BB10_700 Depth=2
	s_or_b64 exec, exec, s[42:43]
	v_lshlrev_b32_e32 v2, 16, v56
	v_lshlrev_b32_e32 v4, 16, v22
	v_pk_mul_f32 v[2:3], v[2:3], v[4:5] op_sel_hi:[0,1]
	v_and_b32_e32 v3, 0x7f800000, v2
	v_cmp_ne_u32_e32 vcc, s59, v3
                                        ; implicit-def: $vgpr22
	s_and_saveexec_b64 s[42:43], vcc
	s_xor_b64 vcc, exec, s[42:43]
; %bb.705:                              ;   in Loop: Header=BB10_700 Depth=2
	v_bfe_u32 v3, v2, 16, 1
	v_add3_u32 v22, v2, v3, s61
                                        ; implicit-def: $vgpr2_vgpr3
; %bb.706:                              ;   in Loop: Header=BB10_700 Depth=2
	s_andn2_saveexec_b64 s[42:43], vcc
; %bb.707:                              ;   in Loop: Header=BB10_700 Depth=2
	v_or_b32_e32 v3, 0x10000, v2
	v_cmp_eq_u32_sdwa vcc, v2, v59 src0_sel:WORD_0 src1_sel:DWORD
	s_nop 1
	v_cndmask_b32_e32 v22, v3, v2, vcc
; %bb.708:                              ;   in Loop: Header=BB10_700 Depth=2
	s_or_b64 exec, exec, s[42:43]
	v_lshlrev_b32_e32 v2, 16, v41
	v_lshlrev_b32_e32 v4, 16, v24
	v_pk_mul_f32 v[2:3], v[2:3], v[4:5] op_sel_hi:[0,1]
	v_and_b32_e32 v3, 0x7f800000, v2
	v_cmp_ne_u32_e32 vcc, s59, v3
                                        ; implicit-def: $vgpr24
	s_and_saveexec_b64 s[42:43], vcc
	s_xor_b64 vcc, exec, s[42:43]
; %bb.709:                              ;   in Loop: Header=BB10_700 Depth=2
	v_bfe_u32 v3, v2, 16, 1
	v_add3_u32 v24, v2, v3, s61
                                        ; implicit-def: $vgpr2_vgpr3
; %bb.710:                              ;   in Loop: Header=BB10_700 Depth=2
	s_andn2_saveexec_b64 s[42:43], vcc
; %bb.711:                              ;   in Loop: Header=BB10_700 Depth=2
	v_or_b32_e32 v3, 0x10000, v2
	v_cmp_eq_u32_sdwa vcc, v2, v59 src0_sel:WORD_0 src1_sel:DWORD
	s_nop 1
	v_cndmask_b32_e32 v24, v3, v2, vcc
; %bb.712:                              ;   in Loop: Header=BB10_700 Depth=2
	s_or_b64 exec, exec, s[42:43]
	v_lshlrev_b32_e32 v2, 16, v40
	v_lshlrev_b32_e32 v4, 16, v27
	v_pk_mul_f32 v[2:3], v[2:3], v[4:5] op_sel_hi:[0,1]
	v_and_b32_e32 v3, 0x7f800000, v2
	v_cmp_ne_u32_e32 vcc, s59, v3
                                        ; implicit-def: $vgpr27
	s_and_saveexec_b64 s[42:43], vcc
	s_xor_b64 vcc, exec, s[42:43]
; %bb.713:                              ;   in Loop: Header=BB10_700 Depth=2
	v_bfe_u32 v3, v2, 16, 1
	v_add3_u32 v27, v2, v3, s61
                                        ; implicit-def: $vgpr2_vgpr3
; %bb.714:                              ;   in Loop: Header=BB10_700 Depth=2
	s_andn2_saveexec_b64 s[42:43], vcc
; %bb.715:                              ;   in Loop: Header=BB10_700 Depth=2
	v_or_b32_e32 v3, 0x10000, v2
	v_cmp_eq_u32_sdwa vcc, v2, v59 src0_sel:WORD_0 src1_sel:DWORD
	s_nop 1
	v_cndmask_b32_e32 v27, v3, v2, vcc
; %bb.716:                              ;   in Loop: Header=BB10_700 Depth=2
	s_or_b64 exec, exec, s[42:43]
	v_lshlrev_b32_e32 v2, 16, v55
	v_lshlrev_b32_e32 v4, 16, v30
	v_pk_mul_f32 v[2:3], v[2:3], v[4:5] op_sel_hi:[0,1]
	v_and_b32_e32 v3, 0x7f800000, v2
	v_cmp_ne_u32_e32 vcc, s59, v3
                                        ; implicit-def: $vgpr30
	s_and_saveexec_b64 s[42:43], vcc
	s_xor_b64 vcc, exec, s[42:43]
; %bb.717:                              ;   in Loop: Header=BB10_700 Depth=2
	v_bfe_u32 v3, v2, 16, 1
	v_add3_u32 v30, v2, v3, s61
                                        ; implicit-def: $vgpr2_vgpr3
; %bb.718:                              ;   in Loop: Header=BB10_700 Depth=2
	s_andn2_saveexec_b64 s[42:43], vcc
; %bb.719:                              ;   in Loop: Header=BB10_700 Depth=2
	v_or_b32_e32 v3, 0x10000, v2
	v_cmp_eq_u32_sdwa vcc, v2, v59 src0_sel:WORD_0 src1_sel:DWORD
	s_nop 1
	v_cndmask_b32_e32 v30, v3, v2, vcc
; %bb.720:                              ;   in Loop: Header=BB10_700 Depth=2
	s_or_b64 exec, exec, s[42:43]
	v_lshlrev_b32_e32 v2, 16, v54
	v_lshlrev_b32_e32 v4, 16, v34
	v_pk_mul_f32 v[2:3], v[2:3], v[4:5] op_sel_hi:[0,1]
	v_and_b32_e32 v3, 0x7f800000, v2
	v_cmp_ne_u32_e32 vcc, s59, v3
                                        ; implicit-def: $vgpr34
	s_and_saveexec_b64 s[42:43], vcc
	s_xor_b64 vcc, exec, s[42:43]
; %bb.721:                              ;   in Loop: Header=BB10_700 Depth=2
	v_bfe_u32 v3, v2, 16, 1
	v_add3_u32 v34, v2, v3, s61
                                        ; implicit-def: $vgpr2_vgpr3
; %bb.722:                              ;   in Loop: Header=BB10_700 Depth=2
	s_andn2_saveexec_b64 s[42:43], vcc
; %bb.723:                              ;   in Loop: Header=BB10_700 Depth=2
	v_or_b32_e32 v3, 0x10000, v2
	v_cmp_eq_u32_sdwa vcc, v2, v59 src0_sel:WORD_0 src1_sel:DWORD
	s_nop 1
	v_cndmask_b32_e32 v34, v3, v2, vcc
; %bb.724:                              ;   in Loop: Header=BB10_700 Depth=2
	s_or_b64 exec, exec, s[42:43]
	v_lshlrev_b32_e32 v2, 16, v53
	v_lshlrev_b32_e32 v4, 16, v37
	v_pk_mul_f32 v[2:3], v[2:3], v[4:5] op_sel_hi:[0,1]
	v_and_b32_e32 v3, 0x7f800000, v2
	v_cmp_ne_u32_e32 vcc, s59, v3
                                        ; implicit-def: $vgpr37
	s_and_saveexec_b64 s[42:43], vcc
	s_xor_b64 vcc, exec, s[42:43]
; %bb.725:                              ;   in Loop: Header=BB10_700 Depth=2
	v_bfe_u32 v3, v2, 16, 1
	v_add3_u32 v37, v2, v3, s61
                                        ; implicit-def: $vgpr2_vgpr3
; %bb.726:                              ;   in Loop: Header=BB10_700 Depth=2
	s_andn2_saveexec_b64 s[42:43], vcc
; %bb.727:                              ;   in Loop: Header=BB10_700 Depth=2
	v_or_b32_e32 v3, 0x10000, v2
	v_cmp_eq_u32_sdwa vcc, v2, v59 src0_sel:WORD_0 src1_sel:DWORD
	s_nop 1
	v_cndmask_b32_e32 v37, v3, v2, vcc
; %bb.728:                              ;   in Loop: Header=BB10_700 Depth=2
	s_or_b64 exec, exec, s[42:43]
	v_lshlrev_b32_e32 v2, 16, v52
	v_lshlrev_b32_e32 v4, 16, v39
	v_pk_mul_f32 v[2:3], v[2:3], v[4:5] op_sel_hi:[0,1]
	v_and_b32_e32 v3, 0x7f800000, v2
	v_cmp_ne_u32_e32 vcc, s59, v3
                                        ; implicit-def: $vgpr39
	s_and_saveexec_b64 s[42:43], vcc
	s_xor_b64 vcc, exec, s[42:43]
; %bb.729:                              ;   in Loop: Header=BB10_700 Depth=2
	v_bfe_u32 v3, v2, 16, 1
	v_add3_u32 v39, v2, v3, s61
                                        ; implicit-def: $vgpr2_vgpr3
; %bb.730:                              ;   in Loop: Header=BB10_700 Depth=2
	s_andn2_saveexec_b64 s[42:43], vcc
; %bb.731:                              ;   in Loop: Header=BB10_700 Depth=2
	v_or_b32_e32 v3, 0x10000, v2
	v_cmp_eq_u32_sdwa vcc, v2, v59 src0_sel:WORD_0 src1_sel:DWORD
	s_nop 1
	v_cndmask_b32_e32 v39, v3, v2, vcc
; %bb.732:                              ;   in Loop: Header=BB10_700 Depth=2
	s_or_b64 exec, exec, s[42:43]
	v_lshlrev_b32_e32 v2, 16, v51
	v_lshlrev_b32_e32 v4, 16, v49
	v_pk_mul_f32 v[2:3], v[2:3], v[4:5] op_sel_hi:[0,1]
	v_and_b32_e32 v3, 0x7f800000, v2
	v_cmp_ne_u32_e32 vcc, s59, v3
                                        ; implicit-def: $vgpr49
	s_and_saveexec_b64 s[42:43], vcc
	s_xor_b64 vcc, exec, s[42:43]
; %bb.733:                              ;   in Loop: Header=BB10_700 Depth=2
	v_bfe_u32 v3, v2, 16, 1
	v_add3_u32 v49, v2, v3, s61
                                        ; implicit-def: $vgpr2_vgpr3
; %bb.734:                              ;   in Loop: Header=BB10_700 Depth=2
	s_andn2_saveexec_b64 s[42:43], vcc
; %bb.735:                              ;   in Loop: Header=BB10_700 Depth=2
	v_or_b32_e32 v3, 0x10000, v2
	v_cmp_eq_u32_sdwa vcc, v2, v59 src0_sel:WORD_0 src1_sel:DWORD
	s_nop 1
	v_cndmask_b32_e32 v49, v3, v2, vcc
; %bb.736:                              ;   in Loop: Header=BB10_700 Depth=2
	s_or_b64 exec, exec, s[42:43]
	v_lshlrev_b32_e32 v2, 16, v50
	v_lshlrev_b32_e32 v4, 16, v48
	v_pk_mul_f32 v[2:3], v[2:3], v[4:5] op_sel_hi:[0,1]
	v_and_b32_e32 v3, 0x7f800000, v2
	v_cmp_ne_u32_e32 vcc, s59, v3
                                        ; implicit-def: $vgpr48
	s_and_saveexec_b64 s[42:43], vcc
	s_xor_b64 vcc, exec, s[42:43]
; %bb.737:                              ;   in Loop: Header=BB10_700 Depth=2
	v_bfe_u32 v3, v2, 16, 1
	v_add3_u32 v48, v2, v3, s61
                                        ; implicit-def: $vgpr2_vgpr3
; %bb.738:                              ;   in Loop: Header=BB10_700 Depth=2
	s_andn2_saveexec_b64 s[42:43], vcc
; %bb.739:                              ;   in Loop: Header=BB10_700 Depth=2
	v_or_b32_e32 v3, 0x10000, v2
	v_cmp_eq_u32_sdwa vcc, v2, v59 src0_sel:WORD_0 src1_sel:DWORD
	s_nop 1
	v_cndmask_b32_e32 v48, v3, v2, vcc
; %bb.740:                              ;   in Loop: Header=BB10_700 Depth=2
	s_or_b64 exec, exec, s[42:43]
	v_lshlrev_b32_e32 v2, 16, v38
	v_lshlrev_b32_e32 v4, 16, v36
	v_pk_mul_f32 v[2:3], v[2:3], v[4:5] op_sel_hi:[0,1]
	v_and_b32_e32 v3, 0x7f800000, v2
	v_cmp_ne_u32_e32 vcc, s59, v3
                                        ; implicit-def: $vgpr36
	s_and_saveexec_b64 s[42:43], vcc
	s_xor_b64 vcc, exec, s[42:43]
; %bb.741:                              ;   in Loop: Header=BB10_700 Depth=2
	v_bfe_u32 v3, v2, 16, 1
	v_add3_u32 v36, v2, v3, s61
                                        ; implicit-def: $vgpr2_vgpr3
; %bb.742:                              ;   in Loop: Header=BB10_700 Depth=2
	s_andn2_saveexec_b64 s[42:43], vcc
; %bb.743:                              ;   in Loop: Header=BB10_700 Depth=2
	v_or_b32_e32 v3, 0x10000, v2
	v_cmp_eq_u32_sdwa vcc, v2, v59 src0_sel:WORD_0 src1_sel:DWORD
	s_nop 1
	v_cndmask_b32_e32 v36, v3, v2, vcc
; %bb.744:                              ;   in Loop: Header=BB10_700 Depth=2
	s_or_b64 exec, exec, s[42:43]
	v_lshlrev_b32_e32 v2, 16, v35
	v_lshlrev_b32_e32 v4, 16, v33
	v_pk_mul_f32 v[2:3], v[2:3], v[4:5] op_sel_hi:[0,1]
	v_and_b32_e32 v3, 0x7f800000, v2
	v_cmp_ne_u32_e32 vcc, s59, v3
                                        ; implicit-def: $vgpr33
	s_and_saveexec_b64 s[42:43], vcc
	s_xor_b64 vcc, exec, s[42:43]
; %bb.745:                              ;   in Loop: Header=BB10_700 Depth=2
	v_bfe_u32 v3, v2, 16, 1
	v_add3_u32 v33, v2, v3, s61
                                        ; implicit-def: $vgpr2_vgpr3
; %bb.746:                              ;   in Loop: Header=BB10_700 Depth=2
	s_andn2_saveexec_b64 s[42:43], vcc
; %bb.747:                              ;   in Loop: Header=BB10_700 Depth=2
	v_or_b32_e32 v3, 0x10000, v2
	v_cmp_eq_u32_sdwa vcc, v2, v59 src0_sel:WORD_0 src1_sel:DWORD
	s_nop 1
	v_cndmask_b32_e32 v33, v3, v2, vcc
; %bb.748:                              ;   in Loop: Header=BB10_700 Depth=2
	s_or_b64 exec, exec, s[42:43]
	v_lshlrev_b32_e32 v2, 16, v32
	v_lshlrev_b32_e32 v4, 16, v29
	v_pk_mul_f32 v[2:3], v[2:3], v[4:5] op_sel_hi:[0,1]
	v_and_b32_e32 v3, 0x7f800000, v2
	v_cmp_ne_u32_e32 vcc, s59, v3
                                        ; implicit-def: $vgpr29
	s_and_saveexec_b64 s[42:43], vcc
	s_xor_b64 vcc, exec, s[42:43]
; %bb.749:                              ;   in Loop: Header=BB10_700 Depth=2
	v_bfe_u32 v3, v2, 16, 1
	v_add3_u32 v29, v2, v3, s61
                                        ; implicit-def: $vgpr2_vgpr3
; %bb.750:                              ;   in Loop: Header=BB10_700 Depth=2
	s_andn2_saveexec_b64 s[42:43], vcc
; %bb.751:                              ;   in Loop: Header=BB10_700 Depth=2
	v_or_b32_e32 v3, 0x10000, v2
	v_cmp_eq_u32_sdwa vcc, v2, v59 src0_sel:WORD_0 src1_sel:DWORD
	s_nop 1
	v_cndmask_b32_e32 v29, v3, v2, vcc
; %bb.752:                              ;   in Loop: Header=BB10_700 Depth=2
	s_or_b64 exec, exec, s[42:43]
	v_lshlrev_b32_e32 v2, 16, v28
	v_lshlrev_b32_e32 v4, 16, v26
	v_pk_mul_f32 v[2:3], v[2:3], v[4:5] op_sel_hi:[0,1]
	v_and_b32_e32 v3, 0x7f800000, v2
	v_cmp_ne_u32_e32 vcc, s59, v3
                                        ; implicit-def: $vgpr26
	s_and_saveexec_b64 s[42:43], vcc
	s_xor_b64 vcc, exec, s[42:43]
; %bb.753:                              ;   in Loop: Header=BB10_700 Depth=2
	v_bfe_u32 v3, v2, 16, 1
	v_add3_u32 v26, v2, v3, s61
                                        ; implicit-def: $vgpr2_vgpr3
; %bb.754:                              ;   in Loop: Header=BB10_700 Depth=2
	s_andn2_saveexec_b64 s[42:43], vcc
; %bb.755:                              ;   in Loop: Header=BB10_700 Depth=2
	v_or_b32_e32 v3, 0x10000, v2
	v_cmp_eq_u32_sdwa vcc, v2, v59 src0_sel:WORD_0 src1_sel:DWORD
	s_nop 1
	v_cndmask_b32_e32 v26, v3, v2, vcc
; %bb.756:                              ;   in Loop: Header=BB10_700 Depth=2
	s_or_b64 exec, exec, s[42:43]
	v_lshlrev_b32_e32 v2, 16, v25
	v_lshlrev_b32_e32 v4, 16, v23
	v_pk_mul_f32 v[2:3], v[2:3], v[4:5] op_sel_hi:[0,1]
	v_and_b32_e32 v3, 0x7f800000, v2
	v_cmp_ne_u32_e32 vcc, s59, v3
                                        ; implicit-def: $vgpr23
	s_and_saveexec_b64 s[42:43], vcc
	s_xor_b64 vcc, exec, s[42:43]
; %bb.757:                              ;   in Loop: Header=BB10_700 Depth=2
	v_bfe_u32 v3, v2, 16, 1
	v_add3_u32 v23, v2, v3, s61
                                        ; implicit-def: $vgpr2_vgpr3
; %bb.758:                              ;   in Loop: Header=BB10_700 Depth=2
	s_andn2_saveexec_b64 s[42:43], vcc
; %bb.759:                              ;   in Loop: Header=BB10_700 Depth=2
	v_or_b32_e32 v3, 0x10000, v2
	v_cmp_eq_u32_sdwa vcc, v2, v59 src0_sel:WORD_0 src1_sel:DWORD
	s_nop 1
	v_cndmask_b32_e32 v23, v3, v2, vcc
; %bb.760:                              ;   in Loop: Header=BB10_700 Depth=2
	s_or_b64 exec, exec, s[42:43]
	v_lshlrev_b32_e32 v2, 16, v21
	v_lshlrev_b32_e32 v4, 16, v19
	v_pk_mul_f32 v[2:3], v[2:3], v[4:5] op_sel_hi:[0,1]
	v_and_b32_e32 v3, 0x7f800000, v2
	v_cmp_ne_u32_e32 vcc, s59, v3
                                        ; implicit-def: $vgpr19
	s_and_saveexec_b64 s[42:43], vcc
	s_xor_b64 vcc, exec, s[42:43]
; %bb.761:                              ;   in Loop: Header=BB10_700 Depth=2
	v_bfe_u32 v3, v2, 16, 1
	v_add3_u32 v19, v2, v3, s61
                                        ; implicit-def: $vgpr2_vgpr3
; %bb.762:                              ;   in Loop: Header=BB10_700 Depth=2
	s_andn2_saveexec_b64 s[42:43], vcc
	s_cbranch_execz .LBB10_699
; %bb.763:                              ;   in Loop: Header=BB10_700 Depth=2
	v_or_b32_e32 v3, 0x10000, v2
	v_cmp_eq_u32_sdwa vcc, v2, v59 src0_sel:WORD_0 src1_sel:DWORD
	s_nop 1
	v_cndmask_b32_e32 v19, v3, v2, vcc
	s_branch .LBB10_699
.LBB10_764:                             ;   in Loop: Header=BB10_454 Depth=1
	s_or_b64 exec, exec, s[40:41]
	v_accvgpr_read_b32 v55, a3
	v_accvgpr_read_b32 v53, a13
	;; [unrolled: 1-line block ×17, first 2 shown]
.LBB10_765:                             ;   in Loop: Header=BB10_454 Depth=1
	s_or_b64 exec, exec, s[38:39]
	v_lshlrev_b32_e32 v2, 11, v18
	v_cmp_ne_u32_e32 vcc, v5, v2
	s_and_b64 exec, exec, vcc
	s_cbranch_execz .LBB10_773
; %bb.766:                              ;   in Loop: Header=BB10_454 Depth=1
	v_add_u32_e32 v3, v1, v17
	v_and_b32_e32 v3, 0xffffffc0, v3
	v_sub_u32_e32 v1, v1, v3
	v_lshlrev_b32_e32 v3, 6, v16
	v_sub_u32_e32 v1, v1, v3
	v_ashrrev_i32_e32 v3, 31, v1
	v_lshrrev_b32_e32 v3, 26, v3
	v_add_u32_e32 v3, v1, v3
	v_and_b32_e32 v4, 0x7fffffc0, v3
	v_sub_u32_e32 v1, v1, v4
	v_lshlrev_b32_e32 v3, 1, v3
	v_and_b32_e32 v3, 0xffffff80, v3
	v_lshlrev_b32_e32 v1, 1, v1
	v_add3_u32 v2, v3, v1, v2
	v_sub_u32_e32 v1, v5, v2
	v_cmp_lt_i32_e32 vcc, 1, v1
	s_and_b64 exec, exec, vcc
	s_cbranch_execz .LBB10_773
; %bb.767:                              ;   in Loop: Header=BB10_454 Depth=1
	s_trap 2
	ds_read_b128 v[4:7], v0
	ds_read_b64 v[8:9], v0
	v_add_u32_e32 v2, v2, v0
	v_ashrrev_i32_e32 v3, 31, v2
	s_mov_b64 s[38:39], 0
	s_waitcnt lgkmcnt(0)
	v_lshl_add_u64 v[12:13], v[6:7], 0, v[2:3]
	v_accvgpr_read_b32 v6, a24
	v_lshl_add_u64 v[10:11], v[4:5], 0, v[2:3]
	v_accvgpr_read_b32 v7, a25
	v_lshl_add_u64 v[14:15], v[8:9], 0, v[2:3]
	s_branch .LBB10_769
.LBB10_768:                             ;   in Loop: Header=BB10_769 Depth=2
	s_or_b64 exec, exec, s[40:41]
	v_sub_u32_e32 v1, v1, v33
	v_cmp_gt_i32_e32 vcc, 2, v1
	flat_store_short_d16_hi v[14:15], v0 nt
	v_lshl_add_u64 v[10:11], v[10:11], 0, v[38:39]
	v_lshl_add_u64 v[12:13], v[12:13], 0, v[38:39]
	s_or_b64 s[38:39], vcc, s[38:39]
	v_lshl_add_u64 v[14:15], v[14:15], 0, v[38:39]
	s_andn2_b64 exec, exec, s[38:39]
	s_cbranch_execz .LBB10_773
.LBB10_769:                             ;   Parent Loop BB10_454 Depth=1
                                        ; =>  This Inner Loop Header: Depth=2
	flat_load_ushort v0, v[12:13] nt
	flat_load_ushort v2, v[10:11] nt
	s_waitcnt vmcnt(0) lgkmcnt(0)
	v_lshlrev_b32_e32 v0, 16, v0
	v_lshlrev_b32_e32 v2, 16, v2
	v_pk_mul_f32 v[2:3], v[0:1], v[2:3] op_sel_hi:[0,1]
	v_and_b32_e32 v0, 0x7f800000, v2
	v_cmp_ne_u32_e32 vcc, s59, v0
                                        ; implicit-def: $vgpr0
	s_and_saveexec_b64 s[40:41], vcc
	s_xor_b64 vcc, exec, s[40:41]
; %bb.770:                              ;   in Loop: Header=BB10_769 Depth=2
	v_bfe_u32 v0, v2, 16, 1
	v_add3_u32 v0, v2, v0, s61
                                        ; implicit-def: $vgpr2_vgpr3
; %bb.771:                              ;   in Loop: Header=BB10_769 Depth=2
	s_andn2_saveexec_b64 s[40:41], vcc
	s_cbranch_execz .LBB10_768
; %bb.772:                              ;   in Loop: Header=BB10_769 Depth=2
	v_or_b32_e32 v0, 0x10000, v2
	v_cmp_eq_u32_sdwa vcc, v2, v59 src0_sel:WORD_0 src1_sel:DWORD
	s_nop 1
	v_cndmask_b32_e32 v0, v0, v2, vcc
	s_branch .LBB10_768
.LBB10_773:                             ;   in Loop: Header=BB10_454 Depth=1
	s_or_b64 exec, exec, s[14:15]
	v_cmp_ne_u32_e64 s[14:15], 0, v35
.LBB10_774:                             ;   in Loop: Header=BB10_454 Depth=1
	s_and_saveexec_b64 s[38:39], s[4:5]
	s_cbranch_execz .LBB10_793
; %bb.775:                              ;   in Loop: Header=BB10_454 Depth=1
	s_and_saveexec_b64 vcc, s[24:25]
	s_xor_b64 s[40:41], exec, vcc
	s_cbranch_execz .LBB10_790
; %bb.776:                              ;   in Loop: Header=BB10_454 Depth=1
	s_and_saveexec_b64 s[42:43], s[6:7]
	s_cbranch_execz .LBB10_789
; %bb.777:                              ;   in Loop: Header=BB10_454 Depth=1
	s_mov_b64 s[46:47], exec
	v_mbcnt_lo_u32_b32 v0, s46, 0
	v_mbcnt_hi_u32_b32 v0, s47, v0
	v_cmp_eq_u32_e32 vcc, 0, v0
	s_waitcnt lgkmcnt(0)
	s_and_saveexec_b64 s[44:45], vcc
	s_cbranch_execz .LBB10_779
; %bb.778:                              ;   in Loop: Header=BB10_454 Depth=1
	s_bcnt1_i32_b64 vcc_lo, s[46:47]
	v_mov_b32_e32 v58, vcc_lo
	ds_add_u64 v0, v[58:59]
	v_accvgpr_read_b32 v58, a0
	s_trap 2
.LBB10_779:                             ;   in Loop: Header=BB10_454 Depth=1
	s_or_b64 exec, exec, s[44:45]
	s_trap 2
	ds_read_b64 v[0:1], v0
	v_accvgpr_read_b32 v2, a20
	v_accvgpr_read_b32 v3, a21
	v_lshl_add_u64 v[2:3], v[2:3], 0, v[6:7]
	v_accvgpr_write_b32 a21, v3
	v_accvgpr_write_b32 a20, v2
	s_waitcnt lgkmcnt(0)
	v_cmp_lt_u64_e32 vcc, v[0:1], v[2:3]
	s_and_saveexec_b64 s[44:45], vcc
	s_cbranch_execz .LBB10_788
; %bb.780:                              ;   in Loop: Header=BB10_454 Depth=1
	s_mov_b32 s63, 0
	s_mov_b64 s[46:47], 0
                                        ; implicit-def: $sgpr48_sgpr49
                                        ; implicit-def: $sgpr50_sgpr51
	s_branch .LBB10_782
.LBB10_781:                             ;   in Loop: Header=BB10_782 Depth=2
	s_or_b64 exec, exec, s[54:55]
	s_and_b64 vcc, exec, vcc
	s_or_b64 s[46:47], vcc, s[46:47]
	s_andn2_b64 vcc, s[48:49], exec
	s_and_b64 s[48:49], s[50:51], exec
	s_or_b64 s[48:49], vcc, s[48:49]
	s_andn2_b64 exec, exec, s[46:47]
	s_cbranch_execz .LBB10_786
.LBB10_782:                             ;   Parent Loop BB10_454 Depth=1
                                        ; =>  This Inner Loop Header: Depth=2
	s_add_i32 s63, s63, 1
	s_cmpk_lg_i32 s63, 0x2710
	s_cselect_b64 s[52:53], -1, 0
	s_and_b64 vcc, exec, s[52:53]
                                        ; implicit-def: $sgpr54_sgpr55
	s_cbranch_vccnz .LBB10_784
; %bb.783:                              ;   in Loop: Header=BB10_782 Depth=2
	s_trap 2
	ds_read_b64 v[0:1], v0
	s_andn2_b64 s[52:53], s[52:53], exec
	s_mov_b32 s63, 0
	s_mov_b64 s[54:55], -1
	s_waitcnt vmcnt(0) lgkmcnt(0)
	flat_load_dword v0, v[0:1] sc0 sc1
	s_waitcnt vmcnt(0) lgkmcnt(0)
	buffer_inv sc0 sc1
	v_cmp_eq_u32_e32 vcc, 0, v0
	s_and_b64 vcc, vcc, exec
	s_or_b64 s[52:53], s[52:53], vcc
.LBB10_784:                             ;   in Loop: Header=BB10_782 Depth=2
	s_andn2_b64 s[50:51], s[50:51], exec
	s_and_b64 s[54:55], s[54:55], exec
	s_mov_b64 vcc, -1
	s_or_b64 s[50:51], s[50:51], s[54:55]
	s_and_saveexec_b64 s[54:55], s[52:53]
	s_cbranch_execz .LBB10_781
; %bb.785:                              ;   in Loop: Header=BB10_782 Depth=2
	s_sleep 1
	s_trap 2
	ds_read_b64 v[0:1], v0
	v_accvgpr_read_b32 v2, a20
	v_accvgpr_read_b32 v3, a21
	s_andn2_b64 s[50:51], s[50:51], exec
	s_waitcnt lgkmcnt(0)
	v_cmp_ge_u64_e32 vcc, v[0:1], v[2:3]
	s_orn2_b64 vcc, vcc, exec
	s_branch .LBB10_781
.LBB10_786:                             ;   in Loop: Header=BB10_454 Depth=1
	s_or_b64 exec, exec, s[46:47]
	s_and_saveexec_b64 vcc, s[48:49]
	s_xor_b64 vcc, exec, vcc
	s_cbranch_execz .LBB10_788
; %bb.787:                              ;   in Loop: Header=BB10_454 Depth=1
	v_mov_b32_e32 v0, 1
	ds_write_b32 v0, v0
	s_trap 2
.LBB10_788:                             ;   in Loop: Header=BB10_454 Depth=1
	s_or_b64 exec, exec, s[44:45]
	;;#ASMSTART
	s_wakeup
	;;#ASMEND
.LBB10_789:                             ;   in Loop: Header=BB10_454 Depth=1
	s_or_b64 exec, exec, s[42:43]
.LBB10_790:                             ;   in Loop: Header=BB10_454 Depth=1
	s_andn2_saveexec_b64 vcc, s[40:41]
	s_cbranch_execz .LBB10_792
; %bb.791:                              ;   in Loop: Header=BB10_454 Depth=1
	s_waitcnt lgkmcnt(0)
	s_barrier
.LBB10_792:                             ;   in Loop: Header=BB10_454 Depth=1
	s_or_b64 exec, exec, vcc
.LBB10_793:                             ;   in Loop: Header=BB10_454 Depth=1
	s_or_b64 exec, exec, s[38:39]
	v_and_b32_e32 v0, 16, v62
	v_cmp_ne_u32_e32 vcc, 0, v0
	s_and_b64 vcc, vcc, s[14:15]
	s_and_saveexec_b64 s[14:15], vcc
	s_cbranch_execz .LBB10_795
; %bb.794:                              ;   in Loop: Header=BB10_454 Depth=1
	buffer_wbl2 sc1
	s_waitcnt vmcnt(0) lgkmcnt(0)
	buffer_inv sc1
.LBB10_795:                             ;   in Loop: Header=BB10_454 Depth=1
	s_or_b64 exec, exec, s[14:15]
	v_and_b32_e32 v0, 32, v62
	v_cmp_ne_u32_e32 vcc, 0, v0
	s_and_saveexec_b64 s[14:15], vcc
	s_cbranch_execz .LBB10_797
; %bb.796:                              ;   in Loop: Header=BB10_454 Depth=1
	v_accvgpr_read_b32 v0, a14
	v_lshl_add_u64 v[52:53], v[52:53], 0, 1
	v_accvgpr_read_b32 v1, a15
	flat_store_dwordx2 v[0:1], v[52:53] sc0 sc1
.LBB10_797:                             ;   in Loop: Header=BB10_454 Depth=1
	s_or_b64 exec, exec, s[14:15]
	v_mov_b32_e32 v0, v34
.LBB10_798:                             ;   in Loop: Header=BB10_454 Depth=1
	s_or_b64 exec, exec, s[36:37]
	s_and_saveexec_b64 s[36:37], s[34:35]
	s_cbranch_execz .LBB10_453
; %bb.799:                              ;   in Loop: Header=BB10_454 Depth=1
	v_and_b32_e32 v1, 4, v62
	v_cmp_ne_u32_e32 vcc, 0, v1
	s_mov_b64 s[34:35], -1
	v_lshl_add_u64 v[10:11], v[52:53], 0, 1
	s_and_saveexec_b64 s[14:15], vcc
	s_cbranch_execnz .LBB10_802
; %bb.800:                              ;   in Loop: Header=BB10_454 Depth=1
	s_or_b64 exec, exec, s[14:15]
	s_xor_b64 s[14:15], s[34:35], -1
	s_and_saveexec_b64 s[34:35], s[14:15]
	s_cbranch_execnz .LBB10_813
.LBB10_801:                             ;   in Loop: Header=BB10_454 Depth=1
	s_or_b64 exec, exec, s[34:35]
	s_and_saveexec_b64 s[14:15], s[4:5]
	s_cbranch_execnz .LBB10_822
	s_branch .LBB10_840
.LBB10_802:                             ;   in Loop: Header=BB10_454 Depth=1
	v_lshl_add_u64 v[12:13], v[52:53], 0, 1
	v_cmp_lt_u64_e32 vcc, v[46:47], v[12:13]
	v_mov_b32_e32 v1, 1
	s_and_saveexec_b64 s[34:35], vcc
	s_cbranch_execz .LBB10_812
; %bb.803:                              ;   in Loop: Header=BB10_454 Depth=1
	s_mov_b64 s[38:39], 0
	v_mov_b32_e32 v1, 0
                                        ; implicit-def: $sgpr40_sgpr41
	s_branch .LBB10_807
.LBB10_804:                             ;   in Loop: Header=BB10_807 Depth=2
	s_or_b64 exec, exec, s[48:49]
	v_mov_b32_e32 v2, 0
	s_orn2_b64 s[46:47], s[46:47], exec
.LBB10_805:                             ;   in Loop: Header=BB10_807 Depth=2
	s_or_b64 exec, exec, s[44:45]
	s_andn2_b64 vcc, s[40:41], exec
	s_and_b64 s[40:41], s[46:47], exec
	s_or_b64 s[40:41], vcc, s[40:41]
	v_mov_b32_e32 v1, v2
.LBB10_806:                             ;   in Loop: Header=BB10_807 Depth=2
	s_or_b64 exec, exec, s[42:43]
	s_waitcnt vmcnt(0) lgkmcnt(0)
	v_cmp_ge_u64_e32 vcc, v[46:47], v[12:13]
	s_xor_b64 s[42:43], s[40:41], -1
	s_or_b64 vcc, s[42:43], vcc
	s_and_b64 vcc, exec, vcc
	s_or_b64 s[38:39], vcc, s[38:39]
	s_andn2_b64 exec, exec, s[38:39]
	s_cbranch_execz .LBB10_811
.LBB10_807:                             ;   Parent Loop BB10_454 Depth=1
                                        ; =>  This Inner Loop Header: Depth=2
	v_accvgpr_read_b32 v2, a14
	v_accvgpr_read_b32 v3, a15
	s_sleep 1
	flat_load_dwordx2 v[46:47], v[2:3] sc0 sc1
	v_and_b32_e32 v2, 64, v62
	v_cmp_eq_u32_e32 vcc, 0, v2
	s_andn2_b64 s[40:41], s[40:41], exec
	s_and_saveexec_b64 s[42:43], vcc
	s_cbranch_execz .LBB10_806
; %bb.808:                              ;   in Loop: Header=BB10_807 Depth=2
	v_add_u32_e32 v2, 1, v1
	v_cmp_lt_i32_e32 vcc, s58, v1
	s_mov_b64 s[46:47], -1
	s_and_saveexec_b64 s[44:45], vcc
	s_cbranch_execz .LBB10_805
; %bb.809:                              ;   in Loop: Header=BB10_807 Depth=2
	s_trap 2
	ds_read_b64 v[2:3], v0
	s_waitcnt vmcnt(0) lgkmcnt(0)
	flat_load_dword v1, v[2:3] sc0 sc1
	s_waitcnt vmcnt(0) lgkmcnt(0)
	buffer_inv sc0 sc1
	v_cmp_ne_u32_e32 vcc, 0, v1
	s_and_saveexec_b64 s[48:49], vcc
	s_cbranch_execz .LBB10_804
; %bb.810:                              ;   in Loop: Header=BB10_807 Depth=2
	v_or_b32_e32 v62, 64, v62
	s_xor_b64 s[46:47], exec, -1
	ds_write_b32 v0, v1
	s_trap 2
	s_branch .LBB10_804
.LBB10_811:                             ;   in Loop: Header=BB10_454 Depth=1
	s_or_b64 exec, exec, s[38:39]
	v_and_b32_e32 v1, 4, v62
.LBB10_812:                             ;   in Loop: Header=BB10_454 Depth=1
	s_or_b64 exec, exec, s[34:35]
	v_cmp_eq_u32_e32 vcc, 0, v1
	s_orn2_b64 s[34:35], vcc, exec
	;;#ASMSTART
	s_wakeup
	;;#ASMEND
	s_or_b64 exec, exec, s[14:15]
	s_xor_b64 s[14:15], s[34:35], -1
	s_and_saveexec_b64 s[34:35], s[14:15]
	s_cbranch_execz .LBB10_801
.LBB10_813:                             ;   in Loop: Header=BB10_454 Depth=1
	v_and_b32_e32 v1, 0x100, v62
	v_cmp_ne_u32_e32 vcc, 0, v1
	v_and_b32_e32 v1, 7, v52
	s_mov_b64 s[14:15], -1
                                        ; implicit-def: $vgpr8_vgpr9
	s_and_saveexec_b64 s[38:39], vcc
	s_cbranch_execz .LBB10_817
; %bb.814:                              ;   in Loop: Header=BB10_454 Depth=1
	v_mad_u64_u32 v[2:3], s[14:15], v1, 24, v[50:51]
	flat_load_dword v4, v[2:3]
                                        ; implicit-def: $vgpr8_vgpr9
	s_waitcnt vmcnt(0) lgkmcnt(0)
	v_cmp_ne_u32_e32 vcc, 1, v4
	v_cmp_eq_u32_e64 s[14:15], 1, v4
	s_and_saveexec_b64 s[40:41], s[14:15]
	s_cbranch_execz .LBB10_816
; %bb.815:                              ;   in Loop: Header=BB10_454 Depth=1
	flat_load_dword v2, v[2:3] offset:4 sc0 sc1
	s_waitcnt vmcnt(0) lgkmcnt(0)
	v_ashrrev_i32_e32 v3, 31, v2
	v_lshrrev_b64 v[8:9], 1, v[2:3]
.LBB10_816:                             ;   in Loop: Header=BB10_454 Depth=1
	s_or_b64 exec, exec, s[40:41]
	s_orn2_b64 s[14:15], vcc, exec
.LBB10_817:                             ;   in Loop: Header=BB10_454 Depth=1
	s_or_b64 exec, exec, s[38:39]
	s_and_saveexec_b64 vcc, s[14:15]
; %bb.818:                              ;   in Loop: Header=BB10_454 Depth=1
	v_mad_i64_i32 v[8:9], s[14:15], v1, v56, 0
; %bb.819:                              ;   in Loop: Header=BB10_454 Depth=1
	s_or_b64 exec, exec, vcc
	v_accvgpr_read_b32 v2, a18
	v_accvgpr_read_b32 v3, a19
	v_and_b32_e32 v1, 0x2000, v62
	v_lshl_add_u64 v[2:3], v[8:9], 1, v[2:3]
	v_cmp_ne_u32_e32 vcc, 0, v1
	ds_write_b64 v0, v[2:3] offset:728
	s_and_saveexec_b64 s[14:15], vcc
	s_cbranch_execz .LBB10_821
; %bb.820:                              ;   in Loop: Header=BB10_454 Depth=1
	ds_read_b64 v[2:3], v0 offset:584
	s_waitcnt lgkmcnt(0)
	v_lshl_add_u64 v[2:3], v[2:3], 0, 1
	ds_write_b64 v0, v[2:3] offset:584
.LBB10_821:                             ;   in Loop: Header=BB10_454 Depth=1
	s_or_b64 exec, exec, s[14:15]
	v_mov_b64_e32 v[52:53], v[10:11]
	s_or_b64 exec, exec, s[34:35]
	s_and_saveexec_b64 s[14:15], s[4:5]
	s_cbranch_execz .LBB10_840
.LBB10_822:                             ;   in Loop: Header=BB10_454 Depth=1
	s_and_saveexec_b64 vcc, s[24:25]
	s_xor_b64 s[34:35], exec, vcc
	s_cbranch_execz .LBB10_837
; %bb.823:                              ;   in Loop: Header=BB10_454 Depth=1
	s_and_saveexec_b64 s[38:39], s[6:7]
	s_cbranch_execz .LBB10_836
; %bb.824:                              ;   in Loop: Header=BB10_454 Depth=1
	s_mov_b64 s[42:43], exec
	v_mbcnt_lo_u32_b32 v1, s42, 0
	v_mbcnt_hi_u32_b32 v1, s43, v1
	v_cmp_eq_u32_e32 vcc, 0, v1
	s_waitcnt lgkmcnt(0)
	s_and_saveexec_b64 s[40:41], vcc
	s_cbranch_execz .LBB10_826
; %bb.825:                              ;   in Loop: Header=BB10_454 Depth=1
	s_bcnt1_i32_b64 vcc_lo, s[42:43]
	v_mov_b32_e32 v58, vcc_lo
	ds_add_u64 v0, v[58:59]
	v_accvgpr_read_b32 v58, a0
	s_trap 2
.LBB10_826:                             ;   in Loop: Header=BB10_454 Depth=1
	s_or_b64 exec, exec, s[40:41]
	s_trap 2
	ds_read_b64 v[2:3], v0
	v_accvgpr_read_b32 v4, a20
	v_accvgpr_read_b32 v5, a21
	v_lshl_add_u64 v[4:5], v[4:5], 0, v[6:7]
	v_accvgpr_write_b32 a21, v5
	v_accvgpr_write_b32 a20, v4
	s_waitcnt lgkmcnt(0)
	v_cmp_lt_u64_e32 vcc, v[2:3], v[4:5]
	s_and_saveexec_b64 s[40:41], vcc
	s_cbranch_execz .LBB10_835
; %bb.827:                              ;   in Loop: Header=BB10_454 Depth=1
	s_mov_b32 s52, 0
	s_mov_b64 s[42:43], 0
                                        ; implicit-def: $sgpr44_sgpr45
                                        ; implicit-def: $sgpr46_sgpr47
	s_branch .LBB10_829
.LBB10_828:                             ;   in Loop: Header=BB10_829 Depth=2
	s_or_b64 exec, exec, s[50:51]
	s_and_b64 vcc, exec, vcc
	s_or_b64 s[42:43], vcc, s[42:43]
	s_andn2_b64 vcc, s[44:45], exec
	s_and_b64 s[44:45], s[46:47], exec
	s_or_b64 s[44:45], vcc, s[44:45]
	s_andn2_b64 exec, exec, s[42:43]
	s_cbranch_execz .LBB10_833
.LBB10_829:                             ;   Parent Loop BB10_454 Depth=1
                                        ; =>  This Inner Loop Header: Depth=2
	s_add_i32 s52, s52, 1
	s_cmpk_lg_i32 s52, 0x2710
	s_cselect_b64 s[48:49], -1, 0
	s_and_b64 vcc, exec, s[48:49]
                                        ; implicit-def: $sgpr50_sgpr51
	s_cbranch_vccnz .LBB10_831
; %bb.830:                              ;   in Loop: Header=BB10_829 Depth=2
	s_trap 2
	ds_read_b64 v[2:3], v0
	s_andn2_b64 s[48:49], s[48:49], exec
	s_mov_b32 s52, 0
	s_mov_b64 s[50:51], -1
	s_waitcnt vmcnt(0) lgkmcnt(0)
	flat_load_dword v1, v[2:3] sc0 sc1
	s_waitcnt vmcnt(0) lgkmcnt(0)
	buffer_inv sc0 sc1
	v_cmp_eq_u32_e32 vcc, 0, v1
	s_and_b64 vcc, vcc, exec
	s_or_b64 s[48:49], s[48:49], vcc
.LBB10_831:                             ;   in Loop: Header=BB10_829 Depth=2
	s_andn2_b64 s[46:47], s[46:47], exec
	s_and_b64 s[50:51], s[50:51], exec
	s_mov_b64 vcc, -1
	s_or_b64 s[46:47], s[46:47], s[50:51]
	s_and_saveexec_b64 s[50:51], s[48:49]
	s_cbranch_execz .LBB10_828
; %bb.832:                              ;   in Loop: Header=BB10_829 Depth=2
	s_sleep 1
	s_trap 2
	ds_read_b64 v[2:3], v0
	v_accvgpr_read_b32 v4, a20
	v_accvgpr_read_b32 v5, a21
	s_andn2_b64 s[46:47], s[46:47], exec
	s_waitcnt lgkmcnt(0)
	v_cmp_ge_u64_e32 vcc, v[2:3], v[4:5]
	s_orn2_b64 vcc, vcc, exec
	s_branch .LBB10_828
.LBB10_833:                             ;   in Loop: Header=BB10_454 Depth=1
	s_or_b64 exec, exec, s[42:43]
	s_and_saveexec_b64 vcc, s[44:45]
	s_xor_b64 vcc, exec, vcc
	s_cbranch_execz .LBB10_835
; %bb.834:                              ;   in Loop: Header=BB10_454 Depth=1
	v_mov_b32_e32 v1, 1
	ds_write_b32 v0, v1
	s_trap 2
.LBB10_835:                             ;   in Loop: Header=BB10_454 Depth=1
	s_or_b64 exec, exec, s[40:41]
	;;#ASMSTART
	s_wakeup
	;;#ASMEND
.LBB10_836:                             ;   in Loop: Header=BB10_454 Depth=1
	s_or_b64 exec, exec, s[38:39]
.LBB10_837:                             ;   in Loop: Header=BB10_454 Depth=1
	s_andn2_saveexec_b64 vcc, s[34:35]
	s_cbranch_execz .LBB10_839
; %bb.838:                              ;   in Loop: Header=BB10_454 Depth=1
	s_waitcnt lgkmcnt(0)
	s_barrier
.LBB10_839:                             ;   in Loop: Header=BB10_454 Depth=1
	s_or_b64 exec, exec, vcc
.LBB10_840:                             ;   in Loop: Header=BB10_454 Depth=1
	s_or_b64 exec, exec, s[14:15]
	s_trap 2
	ds_read_b32 v1, v0
	v_sub_u32_e32 v0, v48, v0
	v_min_i32_e32 v0, v34, v0
	v_cmp_lt_i32_e32 vcc, 0, v0
	v_and_b32_e32 v0, 16, v62
	s_waitcnt lgkmcnt(0)
	v_readfirstlane_b32 s14, v1
	s_cmp_eq_u32 s14, 0
	s_cselect_b64 s[14:15], -1, 0
	s_and_b64 s[14:15], vcc, s[14:15]
	v_cmp_ne_u32_e32 vcc, 0, v0
	s_and_b64 vcc, vcc, s[14:15]
	s_and_saveexec_b64 s[14:15], vcc
	s_cbranch_execz .LBB10_842
; %bb.841:                              ;   in Loop: Header=BB10_454 Depth=1
	buffer_wbl2 sc1
	s_waitcnt vmcnt(0)
	buffer_inv sc1
.LBB10_842:                             ;   in Loop: Header=BB10_454 Depth=1
	s_or_b64 exec, exec, s[14:15]
	v_and_b32_e32 v0, 32, v62
	v_cmp_ne_u32_e32 vcc, 0, v0
	s_and_saveexec_b64 s[14:15], vcc
	s_cbranch_execz .LBB10_452
; %bb.843:                              ;   in Loop: Header=BB10_454 Depth=1
	v_accvgpr_read_b32 v0, a14
	v_lshl_add_u64 v[52:53], v[52:53], 0, 1
	v_accvgpr_read_b32 v1, a15
	flat_store_dwordx2 v[0:1], v[52:53] sc0 sc1
	s_branch .LBB10_452
.LBB10_844:
	s_or_b64 exec, exec, s[26:27]
	v_accvgpr_read_b32 v33, a9
	v_accvgpr_read_b32 v32, a8
.LBB10_845:
	s_or_b64 exec, exec, s[18:19]
.LBB10_846:
	s_or_b64 exec, exec, s[16:17]
                                        ; implicit-def: $vgpr40_vgpr41
                                        ; implicit-def: $vgpr54_vgpr55
                                        ; implicit-def: $agpr24_agpr25
                                        ; implicit-def: $vgpr56
                                        ; implicit-def: $vgpr46_vgpr47
                                        ; implicit-def: $agpr18_agpr19
                                        ; implicit-def: $vgpr44_vgpr45
                                        ; implicit-def: $vgpr58
                                        ; implicit-def: $vgpr17
                                        ; implicit-def: $vgpr34_vgpr35
.LBB10_847:
	s_andn2_saveexec_b64 s[18:19], s[22:23]
	s_cbranch_execz .LBB10_1020
; %bb.848:
	v_mov_b64_e32 v[0:1], 0
	v_accvgpr_write_b32 a21, v1
	s_mov_b64 s[24:25], 0
	v_cmp_ne_u64_e32 vcc, 0, v[54:55]
	v_accvgpr_write_b32 a20, v0
	s_and_saveexec_b64 s[22:23], vcc
	s_cbranch_execz .LBB10_1019
; %bb.849:
	v_ashrrev_i32_e32 v2, 31, v58
	v_lshrrev_b32_e32 v2, 26, v2
	v_add_u32_e32 v2, v58, v2
	v_and_b32_e32 v3, 0xffffffc0, v2
	v_ashrrev_i32_e32 v57, 6, v2
	v_and_b32_e32 v0, 63, v31
	v_sub_u32_e32 v3, v58, v3
	v_lshlrev_b32_e32 v2, 13, v57
	v_cmp_eq_u32_e64 s[6:7], 0, v0
	v_lshrrev_b32_e32 v0, 6, v42
	s_waitcnt vmcnt(0)
	v_lshl_add_u32 v12, v3, 4, v2
	v_mov_b32_e32 v2, 0xffffe000
	v_lshl_add_u32 v2, v0, 13, v2
	v_cmp_gt_i32_e64 s[10:11], 1, v3
	v_cmp_lt_i32_e64 s[12:13], v3, v17
	v_accvgpr_write_b32 a17, v3
	v_ashrrev_i32_e32 v3, 31, v2
	s_mov_b64 s[14:15], 0x2000
	v_lshlrev_b32_e32 v36, 10, v0
	v_lshl_add_u64 v[14:15], v[2:3], 0, s[14:15]
	v_add_u32_e32 v2, 0xfffffc00, v36
	v_ashrrev_i32_e32 v3, 31, v2
	s_mov_b64 s[14:15], 0x400
	v_lshl_add_u64 v[16:17], v[2:3], 0, s[14:15]
	v_mov_b32_e32 v2, 0xfffff800
	v_lshl_add_u32 v2, v0, 11, v2
	v_ashrrev_i32_e32 v3, 31, v2
	s_mov_b64 s[14:15], 0x800
	v_lshlrev_b32_e32 v59, 7, v0
	v_lshl_add_u64 v[18:19], v[2:3], 0, s[14:15]
	v_add_u32_e32 v2, 0xffffff80, v59
	v_ashrrev_i32_e32 v3, 31, v2
	s_mov_b64 s[14:15], 0x80
	s_lshr_b32 s2, s60, 27
	v_lshl_add_u64 v[20:21], v[2:3], 0, s[14:15]
	s_waitcnt lgkmcnt(0)
	v_accvgpr_read_b32 v2, a24
	v_mov_b64_e32 v[22:23], 0
	v_accvgpr_write_b32 a8, v32
	s_add_i32 s60, s60, s2
	v_cmp_eq_u32_e32 vcc, 64, v42
	v_mov_b32_e32 v61, 0
	v_accvgpr_read_b32 v3, a25
	v_accvgpr_write_b32 a20, v22
	v_accvgpr_write_b32 a29, v17
	v_accvgpr_write_b32 a31, v21
	v_accvgpr_write_b32 a9, v33
	s_ashr_i32 s54, s60, 5
	v_cmp_ge_i32_e64 s[2:3], v58, v42
	v_cmp_ne_u32_e64 s[4:5], 64, v42
	v_cmp_ne_u32_sdwa s[26:27], v43, v42 src0_sel:WORD_0 src1_sel:DWORD
	v_mov_b32_e32 v1, v61
	v_ashrrev_i32_e32 v13, 31, v12
	v_cmp_ne_u64_e64 s[14:15], 0, v[2:3]
	s_movk_i32 s55, 0x270e
	v_mov_b32_e32 v32, 1
	s_xor_b64 s[28:29], vcc, -1
	v_accvgpr_write_b32 a21, v23
	v_accvgpr_write_b32 a28, v16
	;; [unrolled: 1-line block ×3, first 2 shown]
	s_trap 2
	s_branch .LBB10_853
.LBB10_850:                             ;   in Loop: Header=BB10_853 Depth=1
	s_or_b64 exec, exec, vcc
	v_lshl_add_u64 v[52:53], v[52:53], 0, 1
	flat_store_dwordx2 v[44:45], v[52:53] sc0 sc1
.LBB10_851:                             ;   in Loop: Header=BB10_853 Depth=1
	s_or_b64 exec, exec, s[16:17]
.LBB10_852:                             ;   in Loop: Header=BB10_853 Depth=1
	s_or_b64 exec, exec, s[34:35]
	v_accvgpr_read_b32 v35, a23
	v_accvgpr_read_b32 v34, a22
	v_lshl_add_u64 v[22:23], v[22:23], 0, v[34:35]
	v_cmp_ge_u64_e32 vcc, v[22:23], v[54:55]
	s_or_b64 s[24:25], vcc, s[24:25]
	s_andn2_b64 exec, exec, s[24:25]
	s_cbranch_execz .LBB10_1018
.LBB10_853:                             ; =>This Loop Header: Depth=1
                                        ;     Child Loop BB10_862 Depth 2
                                        ;     Child Loop BB10_886 Depth 2
	;; [unrolled: 1-line block ×10, first 2 shown]
	v_sub_co_u32_e32 v2, vcc, v54, v22
	v_accvgpr_write_b32 a22, v34
	s_nop 0
	v_subb_co_u32_e32 v3, vcc, v55, v23, vcc
	v_cmp_lt_u64_e32 vcc, v[34:35], v[2:3]
	v_accvgpr_write_b32 a23, v35
	s_nop 0
	v_cndmask_b32_e64 v25, v3, 0, vcc
	v_cndmask_b32_e32 v24, v2, v34, vcc
	v_add_u32_e32 v2, 15, v24
	v_cmp_eq_u64_e32 vcc, 0, v[24:25]
	v_and_b32_e32 v2, 0x3ffffff0, v2
	s_or_b64 s[30:31], s[2:3], vcc
	v_max_i32_e32 v37, s54, v2
	s_xor_b64 s[16:17], s[30:31], -1
	v_mov_b32_e32 v2, 0
	s_and_saveexec_b64 s[34:35], s[16:17]
	s_cbranch_execz .LBB10_971
; %bb.854:                              ;   in Loop: Header=BB10_853 Depth=1
	s_and_saveexec_b64 s[16:17], s[0:1]
	s_cbranch_execz .LBB10_856
; %bb.855:                              ;   in Loop: Header=BB10_853 Depth=1
	s_trap 2
	ds_read_b64 v[2:3], v0
	v_mov_b32_e32 v60, v61
	s_waitcnt lgkmcnt(0)
	v_lshl_add_u64 v[2:3], v[40:41], 1, v[2:3]
	v_lshl_add_u64 v[2:3], v[22:23], 1, v[2:3]
	ds_write_b64 v0, v[2:3]
	ds_write_b64 v0, v[60:61]
.LBB10_856:                             ;   in Loop: Header=BB10_853 Depth=1
	s_or_b64 exec, exec, s[16:17]
	v_and_b32_e32 v2, 8, v62
	v_cmp_ne_u32_e32 vcc, 0, v2
	s_mov_b64 s[36:37], -1
	v_lshl_add_u64 v[26:27], v[52:53], 0, 1
	s_and_saveexec_b64 s[16:17], vcc
	s_cbranch_execz .LBB10_868
; %bb.857:                              ;   in Loop: Header=BB10_853 Depth=1
	v_lshl_add_u64 v[2:3], v[46:47], 0, 8
	v_lshl_add_u64 v[28:29], v[52:53], 0, 1
	v_cmp_lt_u64_e32 vcc, v[2:3], v[28:29]
	v_mov_b32_e32 v2, 1
	s_and_saveexec_b64 s[36:37], vcc
	s_cbranch_execz .LBB10_867
; %bb.858:                              ;   in Loop: Header=BB10_853 Depth=1
	s_mov_b64 s[38:39], 0
	v_mov_b32_e32 v2, 0
                                        ; implicit-def: $sgpr40_sgpr41
	s_branch .LBB10_862
.LBB10_859:                             ;   in Loop: Header=BB10_862 Depth=2
	s_or_b64 exec, exec, s[48:49]
	v_mov_b32_e32 v3, 0
	s_orn2_b64 s[46:47], s[46:47], exec
.LBB10_860:                             ;   in Loop: Header=BB10_862 Depth=2
	s_or_b64 exec, exec, s[44:45]
	s_andn2_b64 vcc, s[40:41], exec
	s_and_b64 s[40:41], s[46:47], exec
	s_or_b64 s[40:41], vcc, s[40:41]
	v_mov_b32_e32 v2, v3
.LBB10_861:                             ;   in Loop: Header=BB10_862 Depth=2
	s_or_b64 exec, exec, s[42:43]
	s_waitcnt vmcnt(0) lgkmcnt(0)
	v_lshl_add_u64 v[4:5], v[46:47], 0, 8
	v_cmp_ge_u64_e32 vcc, v[4:5], v[28:29]
	s_xor_b64 s[42:43], s[40:41], -1
	s_or_b64 vcc, s[42:43], vcc
	s_and_b64 vcc, exec, vcc
	s_or_b64 s[38:39], vcc, s[38:39]
	s_andn2_b64 exec, exec, s[38:39]
	s_cbranch_execz .LBB10_866
.LBB10_862:                             ;   Parent Loop BB10_853 Depth=1
                                        ; =>  This Inner Loop Header: Depth=2
	s_sleep 1
	flat_load_dwordx2 v[46:47], v[44:45] sc0 sc1
	v_and_b32_e32 v3, 64, v62
	v_cmp_eq_u32_e32 vcc, 0, v3
	s_andn2_b64 s[40:41], s[40:41], exec
	s_and_saveexec_b64 s[42:43], vcc
	s_cbranch_execz .LBB10_861
; %bb.863:                              ;   in Loop: Header=BB10_862 Depth=2
	v_add_u32_e32 v3, 1, v2
	v_cmp_lt_i32_e32 vcc, s55, v2
	s_mov_b64 s[46:47], -1
	s_and_saveexec_b64 s[44:45], vcc
	s_cbranch_execz .LBB10_860
; %bb.864:                              ;   in Loop: Header=BB10_862 Depth=2
	s_trap 2
	ds_read_b64 v[2:3], v0
	s_waitcnt vmcnt(0) lgkmcnt(0)
	flat_load_dword v2, v[2:3] sc0 sc1
	s_waitcnt vmcnt(0) lgkmcnt(0)
	buffer_inv sc0 sc1
	v_cmp_ne_u32_e32 vcc, 0, v2
	s_and_saveexec_b64 s[48:49], vcc
	s_cbranch_execz .LBB10_859
; %bb.865:                              ;   in Loop: Header=BB10_862 Depth=2
	v_or_b32_e32 v62, 64, v62
	s_xor_b64 s[46:47], exec, -1
	ds_write_b32 v0, v2
	s_trap 2
	s_branch .LBB10_859
.LBB10_866:                             ;   in Loop: Header=BB10_853 Depth=1
	s_or_b64 exec, exec, s[38:39]
	v_and_b32_e32 v2, 8, v62
.LBB10_867:                             ;   in Loop: Header=BB10_853 Depth=1
	s_or_b64 exec, exec, s[36:37]
	v_cmp_eq_u32_e32 vcc, 0, v2
	s_orn2_b64 s[36:37], vcc, exec
	;;#ASMSTART
	s_wakeup
	;;#ASMEND
.LBB10_868:                             ;   in Loop: Header=BB10_853 Depth=1
	s_or_b64 exec, exec, s[16:17]
	s_xor_b64 s[16:17], s[36:37], -1
	v_min_u32_e32 v37, v37, v24
	s_and_saveexec_b64 s[36:37], s[16:17]
	s_cbranch_execz .LBB10_878
; %bb.869:                              ;   in Loop: Header=BB10_853 Depth=1
	v_and_b32_e32 v2, 0x100, v62
	v_cmp_ne_u32_e32 vcc, 0, v2
	v_and_b32_e32 v25, 7, v52
	s_mov_b64 s[16:17], -1
                                        ; implicit-def: $vgpr8_vgpr9
	s_and_saveexec_b64 s[38:39], vcc
	s_cbranch_execz .LBB10_873
; %bb.870:                              ;   in Loop: Header=BB10_853 Depth=1
	v_mad_u64_u32 v[2:3], s[16:17], v25, 24, v[50:51]
	flat_load_dword v4, v[2:3]
	v_lshlrev_b32_e32 v60, 1, v37
	flat_store_dwordx2 v[2:3], v[60:61] offset:8
                                        ; implicit-def: $vgpr8_vgpr9
	s_waitcnt vmcnt(0) lgkmcnt(0)
	v_cmp_ne_u32_e32 vcc, 1, v4
	v_cmp_eq_u32_e64 s[16:17], 1, v4
	s_and_saveexec_b64 s[40:41], s[16:17]
	s_cbranch_execz .LBB10_872
; %bb.871:                              ;   in Loop: Header=BB10_853 Depth=1
	flat_load_dword v2, v[2:3] offset:4 sc0 sc1
	s_waitcnt vmcnt(0) lgkmcnt(0)
	v_ashrrev_i32_e32 v3, 31, v2
	v_lshrrev_b64 v[8:9], 1, v[2:3]
.LBB10_872:                             ;   in Loop: Header=BB10_853 Depth=1
	s_or_b64 exec, exec, s[40:41]
	s_orn2_b64 s[16:17], vcc, exec
.LBB10_873:                             ;   in Loop: Header=BB10_853 Depth=1
	s_or_b64 exec, exec, s[38:39]
	s_and_saveexec_b64 vcc, s[16:17]
; %bb.874:                              ;   in Loop: Header=BB10_853 Depth=1
	v_mad_i64_i32 v[8:9], s[16:17], v25, v56, 0
; %bb.875:                              ;   in Loop: Header=BB10_853 Depth=1
	s_or_b64 exec, exec, vcc
	v_accvgpr_read_b32 v2, a18
	v_accvgpr_read_b32 v3, a19
	v_lshl_add_u64 v[2:3], v[8:9], 1, v[2:3]
	ds_write_b64 v0, v[2:3] offset:784
	v_and_b32_e32 v2, 0x2000, v62
	v_cmp_ne_u32_e32 vcc, 0, v2
	s_and_saveexec_b64 s[16:17], vcc
	s_cbranch_execz .LBB10_877
; %bb.876:                              ;   in Loop: Header=BB10_853 Depth=1
	ds_read_b64 v[2:3], v0 offset:584
	s_waitcnt lgkmcnt(0)
	v_lshl_add_u64 v[2:3], v[2:3], 0, 1
	ds_write_b64 v0, v[2:3] offset:584
.LBB10_877:                             ;   in Loop: Header=BB10_853 Depth=1
	s_or_b64 exec, exec, s[16:17]
	v_mov_b64_e32 v[52:53], v[26:27]
.LBB10_878:                             ;   in Loop: Header=BB10_853 Depth=1
	s_or_b64 exec, exec, s[36:37]
	s_and_saveexec_b64 s[16:17], s[4:5]
	s_cbranch_execz .LBB10_897
; %bb.879:                              ;   in Loop: Header=BB10_853 Depth=1
	s_and_saveexec_b64 vcc, s[26:27]
	s_xor_b64 s[36:37], exec, vcc
	s_cbranch_execz .LBB10_894
; %bb.880:                              ;   in Loop: Header=BB10_853 Depth=1
	s_and_saveexec_b64 s[38:39], s[6:7]
	s_cbranch_execz .LBB10_893
; %bb.881:                              ;   in Loop: Header=BB10_853 Depth=1
	s_mov_b64 s[42:43], exec
	v_mbcnt_lo_u32_b32 v2, s42, 0
	v_mbcnt_hi_u32_b32 v2, s43, v2
	v_cmp_eq_u32_e32 vcc, 0, v2
	s_waitcnt lgkmcnt(0)
	s_and_saveexec_b64 s[40:41], vcc
	s_cbranch_execz .LBB10_883
; %bb.882:                              ;   in Loop: Header=BB10_853 Depth=1
	s_bcnt1_i32_b64 vcc_lo, s[42:43]
	v_mov_b32_e32 v60, vcc_lo
	ds_add_u64 v0, v[60:61]
	s_trap 2
.LBB10_883:                             ;   in Loop: Header=BB10_853 Depth=1
	s_or_b64 exec, exec, s[40:41]
	s_trap 2
	ds_read_b64 v[2:3], v0
	v_accvgpr_read_b32 v4, a20
	v_accvgpr_read_b32 v5, a21
	v_lshl_add_u64 v[4:5], v[4:5], 0, v[0:1]
	v_accvgpr_write_b32 a21, v5
	v_accvgpr_write_b32 a20, v4
	s_waitcnt lgkmcnt(0)
	v_cmp_lt_u64_e32 vcc, v[2:3], v[4:5]
	s_and_saveexec_b64 s[40:41], vcc
	s_cbranch_execz .LBB10_892
; %bb.884:                              ;   in Loop: Header=BB10_853 Depth=1
	s_mov_b32 s52, 0
	s_mov_b64 s[42:43], 0
                                        ; implicit-def: $sgpr44_sgpr45
                                        ; implicit-def: $sgpr46_sgpr47
	s_branch .LBB10_886
.LBB10_885:                             ;   in Loop: Header=BB10_886 Depth=2
	s_or_b64 exec, exec, s[50:51]
	s_and_b64 vcc, exec, vcc
	s_or_b64 s[42:43], vcc, s[42:43]
	s_andn2_b64 vcc, s[44:45], exec
	s_and_b64 s[44:45], s[46:47], exec
	s_or_b64 s[44:45], vcc, s[44:45]
	s_andn2_b64 exec, exec, s[42:43]
	s_cbranch_execz .LBB10_890
.LBB10_886:                             ;   Parent Loop BB10_853 Depth=1
                                        ; =>  This Inner Loop Header: Depth=2
	s_add_i32 s52, s52, 1
	s_cmpk_lg_i32 s52, 0x2710
	s_cselect_b64 s[48:49], -1, 0
	s_and_b64 vcc, exec, s[48:49]
                                        ; implicit-def: $sgpr50_sgpr51
	s_cbranch_vccnz .LBB10_888
; %bb.887:                              ;   in Loop: Header=BB10_886 Depth=2
	s_trap 2
	ds_read_b64 v[2:3], v0
	s_andn2_b64 s[48:49], s[48:49], exec
	s_mov_b32 s52, 0
	s_mov_b64 s[50:51], -1
	s_waitcnt lgkmcnt(0)
	flat_load_dword v2, v[2:3] sc0 sc1
	s_waitcnt vmcnt(0) lgkmcnt(0)
	buffer_inv sc0 sc1
	v_cmp_eq_u32_e32 vcc, 0, v2
	s_and_b64 vcc, vcc, exec
	s_or_b64 s[48:49], s[48:49], vcc
.LBB10_888:                             ;   in Loop: Header=BB10_886 Depth=2
	s_andn2_b64 s[46:47], s[46:47], exec
	s_and_b64 s[50:51], s[50:51], exec
	s_mov_b64 vcc, -1
	s_or_b64 s[46:47], s[46:47], s[50:51]
	s_and_saveexec_b64 s[50:51], s[48:49]
	s_cbranch_execz .LBB10_885
; %bb.889:                              ;   in Loop: Header=BB10_886 Depth=2
	s_sleep 1
	s_trap 2
	ds_read_b64 v[2:3], v0
	v_accvgpr_read_b32 v4, a20
	v_accvgpr_read_b32 v5, a21
	s_andn2_b64 s[46:47], s[46:47], exec
	s_waitcnt lgkmcnt(0)
	v_cmp_ge_u64_e32 vcc, v[2:3], v[4:5]
	s_orn2_b64 vcc, vcc, exec
	s_branch .LBB10_885
.LBB10_890:                             ;   in Loop: Header=BB10_853 Depth=1
	s_or_b64 exec, exec, s[42:43]
	s_and_saveexec_b64 vcc, s[44:45]
	s_xor_b64 vcc, exec, vcc
	s_cbranch_execz .LBB10_892
; %bb.891:                              ;   in Loop: Header=BB10_853 Depth=1
	ds_write_b32 v0, v32
	s_trap 2
.LBB10_892:                             ;   in Loop: Header=BB10_853 Depth=1
	s_or_b64 exec, exec, s[40:41]
	;;#ASMSTART
	s_wakeup
	;;#ASMEND
.LBB10_893:                             ;   in Loop: Header=BB10_853 Depth=1
	s_or_b64 exec, exec, s[38:39]
.LBB10_894:                             ;   in Loop: Header=BB10_853 Depth=1
	s_andn2_saveexec_b64 vcc, s[36:37]
	s_cbranch_execz .LBB10_896
; %bb.895:                              ;   in Loop: Header=BB10_853 Depth=1
	s_waitcnt lgkmcnt(0)
	s_barrier
.LBB10_896:                             ;   in Loop: Header=BB10_853 Depth=1
	s_or_b64 exec, exec, vcc
.LBB10_897:                             ;   in Loop: Header=BB10_853 Depth=1
	s_or_b64 exec, exec, s[16:17]
	s_trap 2
	ds_read_b32 v2, v0
	v_and_b32_e32 v3, 0x4000, v62
	v_cmp_ne_u32_e32 vcc, 0, v3
	s_and_b64 vcc, s[28:29], vcc
	s_and_saveexec_b64 s[16:17], vcc
	s_cbranch_execz .LBB10_916
; %bb.898:                              ;   in Loop: Header=BB10_853 Depth=1
	s_and_saveexec_b64 vcc, s[26:27]
	s_xor_b64 s[36:37], exec, vcc
	s_cbranch_execz .LBB10_913
; %bb.899:                              ;   in Loop: Header=BB10_853 Depth=1
	s_and_saveexec_b64 s[38:39], s[6:7]
	s_cbranch_execz .LBB10_912
; %bb.900:                              ;   in Loop: Header=BB10_853 Depth=1
	s_mov_b64 s[42:43], exec
	v_mbcnt_lo_u32_b32 v3, s42, 0
	v_mbcnt_hi_u32_b32 v3, s43, v3
	v_cmp_eq_u32_e32 vcc, 0, v3
	s_waitcnt lgkmcnt(0)
	s_and_saveexec_b64 s[40:41], vcc
	s_cbranch_execz .LBB10_902
; %bb.901:                              ;   in Loop: Header=BB10_853 Depth=1
	s_bcnt1_i32_b64 vcc_lo, s[42:43]
	v_mov_b32_e32 v60, vcc_lo
	ds_add_u64 v0, v[60:61]
	s_trap 2
.LBB10_902:                             ;   in Loop: Header=BB10_853 Depth=1
	s_or_b64 exec, exec, s[40:41]
	s_trap 2
	ds_read_b64 v[4:5], v0
	v_accvgpr_read_b32 v6, a20
	v_accvgpr_read_b32 v7, a21
	v_lshl_add_u64 v[6:7], v[6:7], 0, v[0:1]
	v_accvgpr_write_b32 a21, v7
	v_accvgpr_write_b32 a20, v6
	s_waitcnt lgkmcnt(0)
	v_cmp_lt_u64_e32 vcc, v[4:5], v[6:7]
	s_and_saveexec_b64 s[40:41], vcc
	s_cbranch_execz .LBB10_911
; %bb.903:                              ;   in Loop: Header=BB10_853 Depth=1
	s_mov_b32 s52, 0
	s_mov_b64 s[42:43], 0
                                        ; implicit-def: $sgpr44_sgpr45
                                        ; implicit-def: $sgpr46_sgpr47
	s_branch .LBB10_905
.LBB10_904:                             ;   in Loop: Header=BB10_905 Depth=2
	s_or_b64 exec, exec, s[50:51]
	s_and_b64 vcc, exec, vcc
	s_or_b64 s[42:43], vcc, s[42:43]
	s_andn2_b64 vcc, s[44:45], exec
	s_and_b64 s[44:45], s[46:47], exec
	s_or_b64 s[44:45], vcc, s[44:45]
	s_andn2_b64 exec, exec, s[42:43]
	s_cbranch_execz .LBB10_909
.LBB10_905:                             ;   Parent Loop BB10_853 Depth=1
                                        ; =>  This Inner Loop Header: Depth=2
	s_add_i32 s52, s52, 1
	s_cmpk_lg_i32 s52, 0x2710
	s_cselect_b64 s[48:49], -1, 0
	s_and_b64 vcc, exec, s[48:49]
                                        ; implicit-def: $sgpr50_sgpr51
	s_cbranch_vccnz .LBB10_907
; %bb.906:                              ;   in Loop: Header=BB10_905 Depth=2
	s_trap 2
	ds_read_b64 v[4:5], v0
	s_andn2_b64 s[48:49], s[48:49], exec
	s_mov_b32 s52, 0
	s_mov_b64 s[50:51], -1
	s_waitcnt lgkmcnt(0)
	flat_load_dword v3, v[4:5] sc0 sc1
	s_waitcnt vmcnt(0) lgkmcnt(0)
	buffer_inv sc0 sc1
	v_cmp_eq_u32_e32 vcc, 0, v3
	s_and_b64 vcc, vcc, exec
	s_or_b64 s[48:49], s[48:49], vcc
.LBB10_907:                             ;   in Loop: Header=BB10_905 Depth=2
	s_andn2_b64 s[46:47], s[46:47], exec
	s_and_b64 s[50:51], s[50:51], exec
	s_mov_b64 vcc, -1
	s_or_b64 s[46:47], s[46:47], s[50:51]
	s_and_saveexec_b64 s[50:51], s[48:49]
	s_cbranch_execz .LBB10_904
; %bb.908:                              ;   in Loop: Header=BB10_905 Depth=2
	s_sleep 1
	s_trap 2
	ds_read_b64 v[4:5], v0
	v_accvgpr_read_b32 v6, a20
	v_accvgpr_read_b32 v7, a21
	s_andn2_b64 s[46:47], s[46:47], exec
	s_waitcnt lgkmcnt(0)
	v_cmp_ge_u64_e32 vcc, v[4:5], v[6:7]
	s_orn2_b64 vcc, vcc, exec
	s_branch .LBB10_904
.LBB10_909:                             ;   in Loop: Header=BB10_853 Depth=1
	s_or_b64 exec, exec, s[42:43]
	s_and_saveexec_b64 vcc, s[44:45]
	s_xor_b64 vcc, exec, vcc
	s_cbranch_execz .LBB10_911
; %bb.910:                              ;   in Loop: Header=BB10_853 Depth=1
	ds_write_b32 v0, v32
	s_trap 2
.LBB10_911:                             ;   in Loop: Header=BB10_853 Depth=1
	s_or_b64 exec, exec, s[40:41]
	;;#ASMSTART
	s_wakeup
	;;#ASMEND
.LBB10_912:                             ;   in Loop: Header=BB10_853 Depth=1
	s_or_b64 exec, exec, s[38:39]
.LBB10_913:                             ;   in Loop: Header=BB10_853 Depth=1
	s_andn2_saveexec_b64 vcc, s[36:37]
	s_cbranch_execz .LBB10_915
; %bb.914:                              ;   in Loop: Header=BB10_853 Depth=1
	s_waitcnt lgkmcnt(0)
	s_barrier
.LBB10_915:                             ;   in Loop: Header=BB10_853 Depth=1
	s_or_b64 exec, exec, vcc
.LBB10_916:                             ;   in Loop: Header=BB10_853 Depth=1
	s_or_b64 exec, exec, s[16:17]
	s_trap 2
	ds_read_b64 v[4:5], v0
	s_waitcnt lgkmcnt(0)
	v_readfirstlane_b32 s16, v4
	v_readfirstlane_b32 s17, v5
	s_cmp_eq_u64 s[16:17], 0
	s_cselect_b64 s[16:17], -1, 0
	s_or_b64 vcc, s[16:17], s[16:17]
	s_mov_b64 s[16:17], 0
	s_and_b64 vcc, exec, vcc
	s_cbranch_vccnz .LBB10_945
; %bb.917:                              ;   in Loop: Header=BB10_853 Depth=1
	s_mov_b64 s[16:17], -1
	s_and_saveexec_b64 s[36:37], s[10:11]
	s_cbranch_execz .LBB10_919
; %bb.918:                              ;   in Loop: Header=BB10_853 Depth=1
	ds_read_b32 v3, v0 offset:720
	s_waitcnt lgkmcnt(0)
	v_and_b32_e32 v3, 15, v3
	v_cmp_eq_u32_e32 vcc, 0, v3
	s_orn2_b64 s[16:17], vcc, exec
.LBB10_919:                             ;   in Loop: Header=BB10_853 Depth=1
	s_or_b64 exec, exec, s[36:37]
	s_and_saveexec_b64 s[36:37], s[12:13]
	s_cbranch_execz .LBB10_921
; %bb.920:                              ;   in Loop: Header=BB10_853 Depth=1
	ds_read_b32 v3, v0 offset:784
	s_waitcnt lgkmcnt(0)
	v_and_b32_e32 v3, 15, v3
	v_cmp_eq_u32_e32 vcc, 0, v3
	s_and_b64 vcc, s[16:17], vcc
	s_andn2_b64 s[16:17], s[16:17], exec
	s_and_b64 vcc, vcc, exec
	s_or_b64 s[16:17], s[16:17], vcc
.LBB10_921:                             ;   in Loop: Header=BB10_853 Depth=1
	s_or_b64 exec, exec, s[36:37]
	v_cmp_eq_u32_e32 vcc, 0, v2
	s_xor_b64 s[16:17], s[16:17], -1
	v_cndmask_b32_e64 v4, 0, 1, s[16:17]
	v_cndmask_b32_e32 v2, 0, v37, vcc
	v_mov_b32_e32 v10, 0
	v_lshlrev_b32_e32 v3, 1, v2
	s_mov_b64 s[38:39], -1
	;;#ASMSTART
	;;#ASMEND
	s_nop 0
	v_cmp_ne_u32_e32 vcc, 0, v4
	s_cbranch_vccz .LBB10_923
; %bb.922:                              ;   in Loop: Header=BB10_853 Depth=1
	v_mov_b32_e32 v25, v58
	v_mov_b32_e32 v28, v57
	s_and_saveexec_b64 s[16:17], s[38:39]
	s_cbranch_execnz .LBB10_936
	s_branch .LBB10_944
.LBB10_923:                             ;   in Loop: Header=BB10_853 Depth=1
	v_lshrrev_b32_e32 v25, 12, v2
	v_sub_u32_e32 v60, v25, v57
	v_cmp_lt_i32_e32 vcc, 0, v60
	s_and_saveexec_b64 s[36:37], vcc
	s_cbranch_execz .LBB10_927
; %bb.924:                              ;   in Loop: Header=BB10_853 Depth=1
	s_trap 2
	ds_read_b64 v[26:27], v0
	v_accvgpr_write_b32 a14, v44
	v_accvgpr_write_b32 a10, v50
	;; [unrolled: 1-line block ×15, first 2 shown]
	v_mov_b32_e32 v30, v42
	s_mov_b64 s[38:39], 0
	s_waitcnt lgkmcnt(0)
	v_mov_b64_e32 v[28:29], v[26:27]
.LBB10_925:                             ;   Parent Loop BB10_853 Depth=1
                                        ; =>  This Inner Loop Header: Depth=2
	v_lshl_add_u64 v[4:5], v[12:13], 0, v[28:29]
	v_add_co_u32_e32 v42, vcc, 0x1000, v4
	global_load_dwordx4 v[48:51], v[4:5], off nt
	global_load_dwordx4 v[52:55], v[4:5], off offset:1024 nt
	global_load_dwordx4 v[38:41], v[4:5], off offset:2048 nt
	;; [unrolled: 1-line block ×3, first 2 shown]
	v_addc_co_u32_e32 v43, vcc, 0, v5, vcc
	global_load_dwordx4 v[56:59], v[42:43], off nt
	global_load_dwordx4 v[4:7], v[42:43], off offset:1024 nt
	global_load_dwordx4 v[8:11], v[42:43], off offset:2048 nt
	s_nop 0
	global_load_dwordx4 v[42:45], v[42:43], off offset:3072 nt
	v_sub_u32_e32 v60, v60, v0
	v_lshl_add_u64 v[16:17], v[12:13], 0, v[26:27]
	v_cmp_gt_i32_e64 s[16:17], 1, v60
	v_lshl_add_u64 v[28:29], v[28:29], 0, v[14:15]
	v_lshl_add_u64 v[26:27], v[26:27], 0, v[14:15]
	v_add_co_u32_e32 v20, vcc, 0x1000, v16
	s_or_b64 s[38:39], s[16:17], s[38:39]
	s_nop 0
	v_addc_co_u32_e32 v21, vcc, 0, v17, vcc
	s_waitcnt vmcnt(0)
	global_store_dwordx4 v[16:17], v[48:51], off nt
	s_waitcnt vmcnt(7)
	global_store_dwordx4 v[16:17], v[52:55], off offset:1024 nt
	s_waitcnt vmcnt(7)
	global_store_dwordx4 v[16:17], v[38:41], off offset:2048 nt
	;; [unrolled: 2-line block ×3, first 2 shown]
	s_waitcnt vmcnt(7)
	global_store_dwordx4 v[20:21], v[56:59], off nt
	s_waitcnt vmcnt(7)
	global_store_dwordx4 v[20:21], v[4:7], off offset:1024 nt
	s_waitcnt vmcnt(7)
	global_store_dwordx4 v[20:21], v[8:11], off offset:2048 nt
	;; [unrolled: 2-line block ×3, first 2 shown]
	s_andn2_b64 exec, exec, s[38:39]
	s_cbranch_execnz .LBB10_925
; %bb.926:                              ;   in Loop: Header=BB10_853 Depth=1
	s_or_b64 exec, exec, s[38:39]
	v_accvgpr_read_b32 v55, a3
	v_accvgpr_read_b32 v41, a5
	v_accvgpr_read_b32 v53, a13
	v_accvgpr_read_b32 v45, a15
	v_accvgpr_read_b32 v16, a28
	v_accvgpr_read_b32 v20, a30
	v_mov_b32_e32 v42, v30
	v_accvgpr_read_b32 v43, a0
	v_accvgpr_read_b32 v58, a1
	;; [unrolled: 1-line block ×13, first 2 shown]
	v_mov_b32_e32 v32, 1
.LBB10_927:                             ;   in Loop: Header=BB10_853 Depth=1
	s_or_b64 exec, exec, s[36:37]
	v_lshlrev_b32_e32 v30, 13, v25
	v_cmp_ne_u32_e32 vcc, v3, v30
	s_mov_b64 s[38:39], 0
	v_mov_b32_e32 v10, 0
                                        ; implicit-def: $vgpr25
                                        ; implicit-def: $vgpr28
	s_and_saveexec_b64 s[36:37], vcc
	s_cbranch_execz .LBB10_935
; %bb.928:                              ;   in Loop: Header=BB10_853 Depth=1
	v_lshlrev_b32_e32 v5, 6, v60
	v_accvgpr_read_b32 v6, a17
	v_sub_u32_e32 v5, v6, v5
	v_ashrrev_i32_e32 v6, 31, v5
	v_lshrrev_b32_e32 v6, 26, v6
	v_add_u32_e32 v6, v5, v6
	v_ashrrev_i32_e32 v7, 6, v6
	v_and_b32_e32 v6, 0xffffffc0, v6
	v_sub_u32_e32 v11, v5, v6
	v_sub_u32_e32 v4, v3, v30
	v_lshlrev_b32_e32 v5, 4, v11
	v_lshl_add_u32 v25, v7, 10, v5
	v_ashrrev_i32_e32 v5, 31, v4
	v_lshrrev_b32_e32 v5, 22, v5
	v_add_u32_e32 v5, v4, v5
	v_and_b32_e32 v38, 0xfffffc00, v5
	v_sub_u32_e32 v48, v4, v38
	v_ashrrev_i32_e32 v6, 10, v5
	v_cmp_lt_i32_e32 vcc, 15, v48
	v_sub_u32_e32 v10, v4, v25
	s_nop 0
	v_addc_co_u32_e64 v4, s[16:17], 0, v6, vcc
	v_sub_u32_e32 v39, v4, v7
	v_cmp_lt_i32_e64 s[16:17], 15, v10
	s_and_saveexec_b64 s[38:39], s[16:17]
	s_cbranch_execz .LBB10_932
; %bb.929:                              ;   in Loop: Header=BB10_853 Depth=1
	s_trap 2
	ds_read_b64 v[26:27], v0
	v_add_u32_e32 v28, v25, v30
	v_ashrrev_i32_e32 v29, 31, v28
	s_mov_b64 s[40:41], 0
.LBB10_930:                             ;   Parent Loop BB10_853 Depth=1
                                        ; =>  This Inner Loop Header: Depth=2
	s_waitcnt lgkmcnt(0)
	v_lshl_add_u64 v[8:9], v[26:27], 0, v[28:29]
	global_load_dwordx4 v[4:7], v[8:9], off nt
	v_sub_u32_e32 v10, v10, v36
	v_cmp_gt_i32_e64 s[16:17], 16, v10
	v_sub_u32_e32 v39, v39, v0
	v_lshl_add_u64 v[28:29], v[28:29], 0, v[16:17]
	s_or_b64 s[40:41], s[16:17], s[40:41]
	s_waitcnt vmcnt(0)
	global_store_dwordx4 v[8:9], v[4:7], off nt
	s_andn2_b64 exec, exec, s[40:41]
	s_cbranch_execnz .LBB10_930
; %bb.931:                              ;   in Loop: Header=BB10_853 Depth=1
	s_or_b64 exec, exec, s[40:41]
.LBB10_932:                             ;   in Loop: Header=BB10_853 Depth=1
	s_or_b64 exec, exec, s[38:39]
	v_and_b32_e32 v26, 14, v3
	v_cndmask_b32_e32 v3, v48, v26, vcc
	v_cmp_ne_u32_e64 s[16:17], 0, v3
	s_mov_b64 s[38:39], 0
	v_mov_b32_e32 v10, 0
                                        ; implicit-def: $vgpr25
                                        ; implicit-def: $vgpr28
	s_and_saveexec_b64 s[40:41], s[16:17]
	s_cbranch_execz .LBB10_934
; %bb.933:                              ;   in Loop: Header=BB10_853 Depth=1
	v_sub_u32_e32 v4, v48, v26
	v_cndmask_b32_e32 v4, 0, v4, vcc
	v_cmp_lt_i32_e32 vcc, 0, v39
	v_add3_u32 v10, v38, v30, v4
	s_mov_b64 s[38:39], exec
	v_cndmask_b32_e32 v4, 0, v0, vcc
	v_sub_u32_e32 v4, v4, v39
	v_lshl_add_u32 v25, v4, 6, v11
	v_ashrrev_i32_e32 v4, 31, v25
	v_lshrrev_b32_e32 v4, 26, v4
	v_add_u32_e32 v4, v25, v4
	v_ashrrev_i32_e32 v28, 6, v4
.LBB10_934:                             ;   in Loop: Header=BB10_853 Depth=1
	s_or_b64 exec, exec, s[40:41]
	s_and_b64 s[38:39], s[38:39], exec
.LBB10_935:                             ;   in Loop: Header=BB10_853 Depth=1
	s_or_b64 exec, exec, s[36:37]
	s_and_saveexec_b64 s[16:17], s[38:39]
	s_cbranch_execz .LBB10_944
.LBB10_936:                             ;   in Loop: Header=BB10_853 Depth=1
	v_ashrrev_i32_e32 v4, 31, v3
	v_lshrrev_b32_e32 v4, 21, v4
	v_add_u32_e32 v4, v3, v4
	v_ashrrev_i32_e32 v48, 11, v4
	v_sub_u32_e32 v38, v48, v28
	v_ashrrev_i32_e32 v4, 31, v25
	v_cmp_lt_i32_e32 vcc, 0, v38
	v_lshrrev_b32_e32 v39, 26, v4
	s_and_saveexec_b64 s[36:37], vcc
	s_cbranch_execz .LBB10_940
; %bb.937:                              ;   in Loop: Header=BB10_853 Depth=1
	s_trap 2
	ds_read_b64 v[26:27], v0
	v_add_u32_e32 v4, v25, v39
	v_and_b32_e32 v4, 0x7fffffc0, v4
	v_sub_u32_e32 v4, v25, v4
	v_lshlrev_b32_e32 v4, 1, v4
	v_lshlrev_b32_e32 v5, 11, v28
	v_accvgpr_write_b32 a0, v50
	v_add3_u32 v28, v4, v10, v5
	v_accvgpr_write_b32 a1, v51
	v_accvgpr_write_b32 a2, v52
	v_accvgpr_write_b32 a3, v53
	v_ashrrev_i32_e32 v29, 31, v28
	s_mov_b64 s[38:39], 0
	s_waitcnt lgkmcnt(0)
	v_mov_b64_e32 v[52:53], v[26:27]
.LBB10_938:                             ;   Parent Loop BB10_853 Depth=1
                                        ; =>  This Inner Loop Header: Depth=2
	v_lshl_add_u64 v[4:5], v[28:29], 0, v[52:53]
	flat_load_ushort v6, v[4:5] nt
	flat_load_ushort v7, v[4:5] offset:128 nt
	flat_load_ushort v8, v[4:5] offset:256 nt
	;; [unrolled: 1-line block ×15, first 2 shown]
	v_sub_u32_e32 v38, v38, v0
	v_cmp_gt_i32_e32 vcc, 1, v38
	v_lshl_add_u64 v[4:5], v[28:29], 0, v[26:27]
	v_lshl_add_u64 v[52:53], v[52:53], 0, v[18:19]
	;; [unrolled: 1-line block ×3, first 2 shown]
	s_or_b64 s[38:39], vcc, s[38:39]
	s_waitcnt vmcnt(0) lgkmcnt(0)
	flat_store_short v[4:5], v6 nt
	flat_store_short v[4:5], v7 offset:128 nt
	flat_store_short v[4:5], v8 offset:256 nt
	;; [unrolled: 1-line block ×15, first 2 shown]
	s_andn2_b64 exec, exec, s[38:39]
	s_cbranch_execnz .LBB10_938
; %bb.939:                              ;   in Loop: Header=BB10_853 Depth=1
	s_or_b64 exec, exec, s[38:39]
	v_accvgpr_read_b32 v53, a3
	v_accvgpr_read_b32 v16, a28
	;; [unrolled: 1-line block ×8, first 2 shown]
	v_mov_b32_e32 v32, 1
.LBB10_940:                             ;   in Loop: Header=BB10_853 Depth=1
	s_or_b64 exec, exec, s[36:37]
	v_lshlrev_b32_e32 v26, 11, v48
	v_cmp_ne_u32_e32 vcc, v3, v26
	s_and_b64 exec, exec, vcc
	s_cbranch_execz .LBB10_944
; %bb.941:                              ;   in Loop: Header=BB10_853 Depth=1
	v_add_u32_e32 v4, v25, v39
	v_and_b32_e32 v4, 0xffffffc0, v4
	v_sub_u32_e32 v4, v25, v4
	v_lshlrev_b32_e32 v5, 6, v38
	v_sub_u32_e32 v4, v4, v5
	v_ashrrev_i32_e32 v5, 31, v4
	v_lshrrev_b32_e32 v5, 26, v5
	v_add_u32_e32 v5, v4, v5
	v_and_b32_e32 v6, 0x7fffffc0, v5
	v_sub_u32_e32 v4, v4, v6
	v_lshlrev_b32_e32 v5, 1, v5
	v_and_b32_e32 v5, 0xffffff80, v5
	v_lshlrev_b32_e32 v4, 1, v4
	v_add3_u32 v25, v5, v4, v26
	v_sub_u32_e32 v3, v3, v25
	v_cmp_lt_i32_e32 vcc, 1, v3
	s_and_b64 exec, exec, vcc
	s_cbranch_execz .LBB10_944
; %bb.942:                              ;   in Loop: Header=BB10_853 Depth=1
	s_trap 2
	ds_read_b64 v[26:27], v0
	v_add_u32_e32 v28, v25, v10
	v_ashrrev_i32_e32 v29, 31, v28
	s_mov_b64 s[36:37], 0
.LBB10_943:                             ;   Parent Loop BB10_853 Depth=1
                                        ; =>  This Inner Loop Header: Depth=2
	s_waitcnt lgkmcnt(0)
	v_lshl_add_u64 v[4:5], v[26:27], 0, v[28:29]
	flat_load_ushort v6, v[4:5] nt
	v_sub_u32_e32 v3, v3, v59
	v_cmp_gt_i32_e32 vcc, 2, v3
	v_lshl_add_u64 v[28:29], v[28:29], 0, v[20:21]
	s_or_b64 s[36:37], vcc, s[36:37]
	s_waitcnt vmcnt(0) lgkmcnt(0)
	flat_store_short v[4:5], v6 nt
	s_andn2_b64 exec, exec, s[36:37]
	s_cbranch_execnz .LBB10_943
.LBB10_944:                             ;   in Loop: Header=BB10_853 Depth=1
	s_or_b64 exec, exec, s[16:17]
	v_cmp_ne_u32_e64 s[16:17], 0, v2
.LBB10_945:                             ;   in Loop: Header=BB10_853 Depth=1
	s_and_saveexec_b64 s[36:37], s[4:5]
	s_cbranch_execz .LBB10_964
; %bb.946:                              ;   in Loop: Header=BB10_853 Depth=1
	s_and_saveexec_b64 vcc, s[26:27]
	s_xor_b64 s[38:39], exec, vcc
	s_cbranch_execz .LBB10_961
; %bb.947:                              ;   in Loop: Header=BB10_853 Depth=1
	s_and_saveexec_b64 s[40:41], s[6:7]
	s_cbranch_execz .LBB10_960
; %bb.948:                              ;   in Loop: Header=BB10_853 Depth=1
	s_mov_b64 s[44:45], exec
	v_mbcnt_lo_u32_b32 v2, s44, 0
	v_mbcnt_hi_u32_b32 v2, s45, v2
	v_cmp_eq_u32_e32 vcc, 0, v2
	s_waitcnt lgkmcnt(0)
	s_and_saveexec_b64 s[42:43], vcc
	s_cbranch_execz .LBB10_950
; %bb.949:                              ;   in Loop: Header=BB10_853 Depth=1
	s_bcnt1_i32_b64 vcc_lo, s[44:45]
	v_mov_b32_e32 v60, vcc_lo
	ds_add_u64 v0, v[60:61]
	s_trap 2
.LBB10_950:                             ;   in Loop: Header=BB10_853 Depth=1
	s_or_b64 exec, exec, s[42:43]
	s_trap 2
	ds_read_b64 v[2:3], v0
	v_accvgpr_read_b32 v4, a20
	v_accvgpr_read_b32 v5, a21
	v_lshl_add_u64 v[4:5], v[4:5], 0, v[0:1]
	v_accvgpr_write_b32 a21, v5
	v_accvgpr_write_b32 a20, v4
	s_waitcnt lgkmcnt(0)
	v_cmp_lt_u64_e32 vcc, v[2:3], v[4:5]
	s_and_saveexec_b64 s[42:43], vcc
	s_cbranch_execz .LBB10_959
; %bb.951:                              ;   in Loop: Header=BB10_853 Depth=1
	s_mov_b32 s56, 0
	s_mov_b64 s[44:45], 0
                                        ; implicit-def: $sgpr46_sgpr47
                                        ; implicit-def: $sgpr48_sgpr49
	s_branch .LBB10_953
.LBB10_952:                             ;   in Loop: Header=BB10_953 Depth=2
	s_or_b64 exec, exec, s[52:53]
	s_and_b64 vcc, exec, vcc
	s_or_b64 s[44:45], vcc, s[44:45]
	s_andn2_b64 vcc, s[46:47], exec
	s_and_b64 s[46:47], s[48:49], exec
	s_or_b64 s[46:47], vcc, s[46:47]
	s_andn2_b64 exec, exec, s[44:45]
	s_cbranch_execz .LBB10_957
.LBB10_953:                             ;   Parent Loop BB10_853 Depth=1
                                        ; =>  This Inner Loop Header: Depth=2
	s_add_i32 s56, s56, 1
	s_cmpk_lg_i32 s56, 0x2710
	s_cselect_b64 s[50:51], -1, 0
	s_and_b64 vcc, exec, s[50:51]
                                        ; implicit-def: $sgpr52_sgpr53
	s_cbranch_vccnz .LBB10_955
; %bb.954:                              ;   in Loop: Header=BB10_953 Depth=2
	s_trap 2
	ds_read_b64 v[2:3], v0
	s_andn2_b64 s[50:51], s[50:51], exec
	s_mov_b32 s56, 0
	s_mov_b64 s[52:53], -1
	s_waitcnt vmcnt(0) lgkmcnt(0)
	flat_load_dword v2, v[2:3] sc0 sc1
	s_waitcnt vmcnt(0) lgkmcnt(0)
	buffer_inv sc0 sc1
	v_cmp_eq_u32_e32 vcc, 0, v2
	s_and_b64 vcc, vcc, exec
	s_or_b64 s[50:51], s[50:51], vcc
.LBB10_955:                             ;   in Loop: Header=BB10_953 Depth=2
	s_andn2_b64 s[48:49], s[48:49], exec
	s_and_b64 s[52:53], s[52:53], exec
	s_mov_b64 vcc, -1
	s_or_b64 s[48:49], s[48:49], s[52:53]
	s_and_saveexec_b64 s[52:53], s[50:51]
	s_cbranch_execz .LBB10_952
; %bb.956:                              ;   in Loop: Header=BB10_953 Depth=2
	s_sleep 1
	s_trap 2
	ds_read_b64 v[2:3], v0
	v_accvgpr_read_b32 v4, a20
	v_accvgpr_read_b32 v5, a21
	s_andn2_b64 s[48:49], s[48:49], exec
	s_waitcnt lgkmcnt(0)
	v_cmp_ge_u64_e32 vcc, v[2:3], v[4:5]
	s_orn2_b64 vcc, vcc, exec
	s_branch .LBB10_952
.LBB10_957:                             ;   in Loop: Header=BB10_853 Depth=1
	s_or_b64 exec, exec, s[44:45]
	s_and_saveexec_b64 vcc, s[46:47]
	s_xor_b64 vcc, exec, vcc
	s_cbranch_execz .LBB10_959
; %bb.958:                              ;   in Loop: Header=BB10_853 Depth=1
	ds_write_b32 v0, v32
	s_trap 2
.LBB10_959:                             ;   in Loop: Header=BB10_853 Depth=1
	s_or_b64 exec, exec, s[42:43]
	;;#ASMSTART
	s_wakeup
	;;#ASMEND
.LBB10_960:                             ;   in Loop: Header=BB10_853 Depth=1
	s_or_b64 exec, exec, s[40:41]
.LBB10_961:                             ;   in Loop: Header=BB10_853 Depth=1
	s_andn2_saveexec_b64 vcc, s[38:39]
	s_cbranch_execz .LBB10_963
; %bb.962:                              ;   in Loop: Header=BB10_853 Depth=1
	s_waitcnt lgkmcnt(0)
	s_barrier
.LBB10_963:                             ;   in Loop: Header=BB10_853 Depth=1
	s_or_b64 exec, exec, vcc
.LBB10_964:                             ;   in Loop: Header=BB10_853 Depth=1
	s_or_b64 exec, exec, s[36:37]
	v_and_b32_e32 v2, 16, v62
	v_cmp_ne_u32_e32 vcc, 0, v2
	s_and_b64 vcc, vcc, s[16:17]
	s_and_saveexec_b64 s[16:17], vcc
	s_cbranch_execz .LBB10_966
; %bb.965:                              ;   in Loop: Header=BB10_853 Depth=1
	buffer_wbl2 sc1
	s_waitcnt vmcnt(0) lgkmcnt(0)
	buffer_inv sc1
.LBB10_966:                             ;   in Loop: Header=BB10_853 Depth=1
	s_or_b64 exec, exec, s[16:17]
	v_cmp_ne_u32_e32 vcc, 0, v2
	s_and_saveexec_b64 s[16:17], vcc
	s_cbranch_execz .LBB10_970
; %bb.967:                              ;   in Loop: Header=BB10_853 Depth=1
	s_and_saveexec_b64 vcc, s[14:15]
	s_cbranch_execz .LBB10_969
; %bb.968:                              ;   in Loop: Header=BB10_853 Depth=1
	v_accvgpr_read_b32 v2, a24
	v_accvgpr_read_b32 v3, a25
	flat_store_dword v[2:3], v32 sc0 sc1
.LBB10_969:                             ;   in Loop: Header=BB10_853 Depth=1
	s_or_b64 exec, exec, vcc
	v_lshl_add_u64 v[52:53], v[52:53], 0, 1
	flat_store_dwordx2 v[44:45], v[52:53] sc0 sc1
.LBB10_970:                             ;   in Loop: Header=BB10_853 Depth=1
	s_or_b64 exec, exec, s[16:17]
	v_mov_b32_e32 v2, v37
.LBB10_971:                             ;   in Loop: Header=BB10_853 Depth=1
	s_or_b64 exec, exec, s[34:35]
	s_and_saveexec_b64 s[34:35], s[30:31]
	s_cbranch_execz .LBB10_852
; %bb.972:                              ;   in Loop: Header=BB10_853 Depth=1
	v_and_b32_e32 v3, 8, v62
	v_cmp_ne_u32_e32 vcc, 0, v3
	s_mov_b64 s[30:31], -1
	v_lshl_add_u64 v[26:27], v[52:53], 0, 1
	s_and_saveexec_b64 s[16:17], vcc
	s_cbranch_execz .LBB10_984
; %bb.973:                              ;   in Loop: Header=BB10_853 Depth=1
	v_lshl_add_u64 v[4:5], v[46:47], 0, 8
	v_lshl_add_u64 v[28:29], v[52:53], 0, 1
	v_cmp_lt_u64_e32 vcc, v[4:5], v[28:29]
	v_mov_b32_e32 v3, 1
	s_and_saveexec_b64 s[30:31], vcc
	s_cbranch_execz .LBB10_983
; %bb.974:                              ;   in Loop: Header=BB10_853 Depth=1
	s_mov_b64 s[36:37], 0
	v_mov_b32_e32 v3, 0
                                        ; implicit-def: $sgpr38_sgpr39
	s_branch .LBB10_978
.LBB10_975:                             ;   in Loop: Header=BB10_978 Depth=2
	s_or_b64 exec, exec, s[46:47]
	v_mov_b32_e32 v10, 0
	s_orn2_b64 s[44:45], s[44:45], exec
.LBB10_976:                             ;   in Loop: Header=BB10_978 Depth=2
	s_or_b64 exec, exec, s[42:43]
	s_andn2_b64 vcc, s[38:39], exec
	s_and_b64 s[38:39], s[44:45], exec
	s_or_b64 s[38:39], vcc, s[38:39]
	v_mov_b32_e32 v3, v10
.LBB10_977:                             ;   in Loop: Header=BB10_978 Depth=2
	s_or_b64 exec, exec, s[40:41]
	s_waitcnt vmcnt(0) lgkmcnt(0)
	v_lshl_add_u64 v[4:5], v[46:47], 0, 8
	v_cmp_ge_u64_e32 vcc, v[4:5], v[28:29]
	s_xor_b64 s[40:41], s[38:39], -1
	s_or_b64 vcc, s[40:41], vcc
	s_and_b64 vcc, exec, vcc
	s_or_b64 s[36:37], vcc, s[36:37]
	s_andn2_b64 exec, exec, s[36:37]
	s_cbranch_execz .LBB10_982
.LBB10_978:                             ;   Parent Loop BB10_853 Depth=1
                                        ; =>  This Inner Loop Header: Depth=2
	s_sleep 1
	flat_load_dwordx2 v[46:47], v[44:45] sc0 sc1
	v_and_b32_e32 v4, 64, v62
	v_cmp_eq_u32_e32 vcc, 0, v4
	s_andn2_b64 s[38:39], s[38:39], exec
	s_and_saveexec_b64 s[40:41], vcc
	s_cbranch_execz .LBB10_977
; %bb.979:                              ;   in Loop: Header=BB10_978 Depth=2
	v_add_u32_e32 v10, 1, v3
	v_cmp_lt_i32_e32 vcc, s55, v3
	s_mov_b64 s[44:45], -1
	s_and_saveexec_b64 s[42:43], vcc
	s_cbranch_execz .LBB10_976
; %bb.980:                              ;   in Loop: Header=BB10_978 Depth=2
	s_trap 2
	ds_read_b64 v[4:5], v0
	s_waitcnt vmcnt(0) lgkmcnt(0)
	flat_load_dword v3, v[4:5] sc0 sc1
	s_waitcnt vmcnt(0) lgkmcnt(0)
	buffer_inv sc0 sc1
	v_cmp_ne_u32_e32 vcc, 0, v3
	s_and_saveexec_b64 s[46:47], vcc
	s_cbranch_execz .LBB10_975
; %bb.981:                              ;   in Loop: Header=BB10_978 Depth=2
	v_or_b32_e32 v62, 64, v62
	s_xor_b64 s[44:45], exec, -1
	ds_write_b32 v0, v3
	s_trap 2
	s_branch .LBB10_975
.LBB10_982:                             ;   in Loop: Header=BB10_853 Depth=1
	s_or_b64 exec, exec, s[36:37]
	v_and_b32_e32 v3, 8, v62
.LBB10_983:                             ;   in Loop: Header=BB10_853 Depth=1
	s_or_b64 exec, exec, s[30:31]
	v_cmp_eq_u32_e32 vcc, 0, v3
	s_orn2_b64 s[30:31], vcc, exec
	;;#ASMSTART
	s_wakeup
	;;#ASMEND
.LBB10_984:                             ;   in Loop: Header=BB10_853 Depth=1
	s_or_b64 exec, exec, s[16:17]
	v_sub_u32_e32 v2, v24, v2
	s_xor_b64 s[16:17], s[30:31], -1
	v_min_i32_e32 v24, v37, v2
	s_and_saveexec_b64 s[30:31], s[16:17]
	s_cbranch_execz .LBB10_994
; %bb.985:                              ;   in Loop: Header=BB10_853 Depth=1
	v_and_b32_e32 v2, 0x100, v62
	v_cmp_ne_u32_e32 vcc, 0, v2
	v_and_b32_e32 v10, 7, v52
	s_mov_b64 s[16:17], -1
                                        ; implicit-def: $vgpr8_vgpr9
	s_and_saveexec_b64 s[36:37], vcc
	s_cbranch_execz .LBB10_989
; %bb.986:                              ;   in Loop: Header=BB10_853 Depth=1
	v_mad_u64_u32 v[2:3], s[16:17], v10, 24, v[50:51]
	flat_load_dword v6, v[2:3]
	v_ashrrev_i32_e32 v25, 31, v24
	v_lshlrev_b64 v[4:5], 1, v[24:25]
	flat_store_dwordx2 v[2:3], v[4:5] offset:8
                                        ; implicit-def: $vgpr8_vgpr9
	s_waitcnt vmcnt(0) lgkmcnt(0)
	v_cmp_ne_u32_e32 vcc, 1, v6
	v_cmp_eq_u32_e64 s[16:17], 1, v6
	s_and_saveexec_b64 s[38:39], s[16:17]
	s_cbranch_execz .LBB10_988
; %bb.987:                              ;   in Loop: Header=BB10_853 Depth=1
	flat_load_dword v2, v[2:3] offset:4 sc0 sc1
	s_waitcnt vmcnt(0) lgkmcnt(0)
	v_ashrrev_i32_e32 v3, 31, v2
	v_lshrrev_b64 v[8:9], 1, v[2:3]
.LBB10_988:                             ;   in Loop: Header=BB10_853 Depth=1
	s_or_b64 exec, exec, s[38:39]
	s_orn2_b64 s[16:17], vcc, exec
.LBB10_989:                             ;   in Loop: Header=BB10_853 Depth=1
	s_or_b64 exec, exec, s[36:37]
	s_and_saveexec_b64 vcc, s[16:17]
; %bb.990:                              ;   in Loop: Header=BB10_853 Depth=1
	v_mad_i64_i32 v[8:9], s[16:17], v10, v56, 0
; %bb.991:                              ;   in Loop: Header=BB10_853 Depth=1
	s_or_b64 exec, exec, vcc
	v_accvgpr_read_b32 v2, a18
	v_accvgpr_read_b32 v3, a19
	v_lshl_add_u64 v[2:3], v[8:9], 1, v[2:3]
	ds_write_b64 v0, v[2:3] offset:784
	v_and_b32_e32 v2, 0x2000, v62
	v_cmp_ne_u32_e32 vcc, 0, v2
	s_and_saveexec_b64 s[16:17], vcc
	s_cbranch_execz .LBB10_993
; %bb.992:                              ;   in Loop: Header=BB10_853 Depth=1
	ds_read_b64 v[2:3], v0 offset:584
	s_waitcnt lgkmcnt(0)
	v_lshl_add_u64 v[2:3], v[2:3], 0, 1
	ds_write_b64 v0, v[2:3] offset:584
.LBB10_993:                             ;   in Loop: Header=BB10_853 Depth=1
	s_or_b64 exec, exec, s[16:17]
	v_mov_b64_e32 v[52:53], v[26:27]
.LBB10_994:                             ;   in Loop: Header=BB10_853 Depth=1
	s_or_b64 exec, exec, s[30:31]
	s_and_saveexec_b64 s[16:17], s[4:5]
	s_cbranch_execz .LBB10_1013
; %bb.995:                              ;   in Loop: Header=BB10_853 Depth=1
	s_and_saveexec_b64 vcc, s[26:27]
	s_xor_b64 s[30:31], exec, vcc
	s_cbranch_execz .LBB10_1010
; %bb.996:                              ;   in Loop: Header=BB10_853 Depth=1
	s_and_saveexec_b64 s[36:37], s[6:7]
	s_cbranch_execz .LBB10_1009
; %bb.997:                              ;   in Loop: Header=BB10_853 Depth=1
	s_mov_b64 s[40:41], exec
	v_mbcnt_lo_u32_b32 v2, s40, 0
	v_mbcnt_hi_u32_b32 v2, s41, v2
	v_cmp_eq_u32_e32 vcc, 0, v2
	s_waitcnt lgkmcnt(0)
	s_and_saveexec_b64 s[38:39], vcc
	s_cbranch_execz .LBB10_999
; %bb.998:                              ;   in Loop: Header=BB10_853 Depth=1
	s_bcnt1_i32_b64 vcc_lo, s[40:41]
	v_mov_b32_e32 v60, vcc_lo
	ds_add_u64 v0, v[60:61]
	s_trap 2
.LBB10_999:                             ;   in Loop: Header=BB10_853 Depth=1
	s_or_b64 exec, exec, s[38:39]
	s_trap 2
	ds_read_b64 v[2:3], v0
	v_accvgpr_read_b32 v4, a20
	v_accvgpr_read_b32 v5, a21
	v_lshl_add_u64 v[4:5], v[4:5], 0, v[0:1]
	v_accvgpr_write_b32 a21, v5
	v_accvgpr_write_b32 a20, v4
	s_waitcnt lgkmcnt(0)
	v_cmp_lt_u64_e32 vcc, v[2:3], v[4:5]
	s_and_saveexec_b64 s[38:39], vcc
	s_cbranch_execz .LBB10_1008
; %bb.1000:                             ;   in Loop: Header=BB10_853 Depth=1
	s_mov_b32 s50, 0
	s_mov_b64 s[40:41], 0
                                        ; implicit-def: $sgpr42_sgpr43
                                        ; implicit-def: $sgpr44_sgpr45
	s_branch .LBB10_1002
.LBB10_1001:                            ;   in Loop: Header=BB10_1002 Depth=2
	s_or_b64 exec, exec, s[48:49]
	s_and_b64 vcc, exec, vcc
	s_or_b64 s[40:41], vcc, s[40:41]
	s_andn2_b64 vcc, s[42:43], exec
	s_and_b64 s[42:43], s[44:45], exec
	s_or_b64 s[42:43], vcc, s[42:43]
	s_andn2_b64 exec, exec, s[40:41]
	s_cbranch_execz .LBB10_1006
.LBB10_1002:                            ;   Parent Loop BB10_853 Depth=1
                                        ; =>  This Inner Loop Header: Depth=2
	s_add_i32 s50, s50, 1
	s_cmpk_lg_i32 s50, 0x2710
	s_cselect_b64 s[46:47], -1, 0
	s_and_b64 vcc, exec, s[46:47]
                                        ; implicit-def: $sgpr48_sgpr49
	s_cbranch_vccnz .LBB10_1004
; %bb.1003:                             ;   in Loop: Header=BB10_1002 Depth=2
	s_trap 2
	ds_read_b64 v[2:3], v0
	s_andn2_b64 s[46:47], s[46:47], exec
	s_mov_b32 s50, 0
	s_mov_b64 s[48:49], -1
	s_waitcnt vmcnt(0) lgkmcnt(0)
	flat_load_dword v2, v[2:3] sc0 sc1
	s_waitcnt vmcnt(0) lgkmcnt(0)
	buffer_inv sc0 sc1
	v_cmp_eq_u32_e32 vcc, 0, v2
	s_and_b64 vcc, vcc, exec
	s_or_b64 s[46:47], s[46:47], vcc
.LBB10_1004:                            ;   in Loop: Header=BB10_1002 Depth=2
	s_andn2_b64 s[44:45], s[44:45], exec
	s_and_b64 s[48:49], s[48:49], exec
	s_mov_b64 vcc, -1
	s_or_b64 s[44:45], s[44:45], s[48:49]
	s_and_saveexec_b64 s[48:49], s[46:47]
	s_cbranch_execz .LBB10_1001
; %bb.1005:                             ;   in Loop: Header=BB10_1002 Depth=2
	s_sleep 1
	s_trap 2
	ds_read_b64 v[2:3], v0
	v_accvgpr_read_b32 v4, a20
	v_accvgpr_read_b32 v5, a21
	s_andn2_b64 s[44:45], s[44:45], exec
	s_waitcnt lgkmcnt(0)
	v_cmp_ge_u64_e32 vcc, v[2:3], v[4:5]
	s_orn2_b64 vcc, vcc, exec
	s_branch .LBB10_1001
.LBB10_1006:                            ;   in Loop: Header=BB10_853 Depth=1
	s_or_b64 exec, exec, s[40:41]
	s_and_saveexec_b64 vcc, s[42:43]
	s_xor_b64 vcc, exec, vcc
	s_cbranch_execz .LBB10_1008
; %bb.1007:                             ;   in Loop: Header=BB10_853 Depth=1
	ds_write_b32 v0, v32
	s_trap 2
.LBB10_1008:                            ;   in Loop: Header=BB10_853 Depth=1
	s_or_b64 exec, exec, s[38:39]
	;;#ASMSTART
	s_wakeup
	;;#ASMEND
.LBB10_1009:                            ;   in Loop: Header=BB10_853 Depth=1
	s_or_b64 exec, exec, s[36:37]
.LBB10_1010:                            ;   in Loop: Header=BB10_853 Depth=1
	s_andn2_saveexec_b64 vcc, s[30:31]
	s_cbranch_execz .LBB10_1012
; %bb.1011:                             ;   in Loop: Header=BB10_853 Depth=1
	s_waitcnt lgkmcnt(0)
	s_barrier
.LBB10_1012:                            ;   in Loop: Header=BB10_853 Depth=1
	s_or_b64 exec, exec, vcc
.LBB10_1013:                            ;   in Loop: Header=BB10_853 Depth=1
	s_or_b64 exec, exec, s[16:17]
	s_trap 2
	ds_read_b32 v3, v0
	v_cmp_lt_i32_e32 vcc, 0, v24
	v_and_b32_e32 v2, 16, v62
	s_waitcnt lgkmcnt(0)
	v_readfirstlane_b32 s16, v3
	s_cmp_eq_u32 s16, 0
	s_cselect_b64 s[16:17], -1, 0
	s_and_b64 s[16:17], vcc, s[16:17]
	v_cmp_ne_u32_e32 vcc, 0, v2
	s_and_b64 vcc, vcc, s[16:17]
	s_and_saveexec_b64 s[16:17], vcc
	s_cbranch_execz .LBB10_1015
; %bb.1014:                             ;   in Loop: Header=BB10_853 Depth=1
	buffer_wbl2 sc1
	s_waitcnt vmcnt(0)
	buffer_inv sc1
.LBB10_1015:                            ;   in Loop: Header=BB10_853 Depth=1
	s_or_b64 exec, exec, s[16:17]
	v_cmp_ne_u32_e32 vcc, 0, v2
	s_and_saveexec_b64 s[16:17], vcc
	s_cbranch_execz .LBB10_851
; %bb.1016:                             ;   in Loop: Header=BB10_853 Depth=1
	s_and_saveexec_b64 vcc, s[14:15]
	s_cbranch_execz .LBB10_850
; %bb.1017:                             ;   in Loop: Header=BB10_853 Depth=1
	v_accvgpr_read_b32 v2, a24
	v_accvgpr_read_b32 v3, a25
	flat_store_dword v[2:3], v32 sc0 sc1
	s_branch .LBB10_850
.LBB10_1018:
	s_or_b64 exec, exec, s[24:25]
	v_accvgpr_read_b32 v33, a9
	v_accvgpr_read_b32 v32, a8
.LBB10_1019:
	s_or_b64 exec, exec, s[22:23]
.LBB10_1020:
	s_or_b64 exec, exec, s[18:19]
	v_and_b32_e32 v0, 0x800, v62
	v_cmp_eq_u32_e32 vcc, 0, v0
	s_and_saveexec_b64 s[0:1], vcc
	s_cbranch_execz .LBB10_1055
; %bb.1021:
	v_and_b32_e32 v0, 48, v62
	v_cmp_ne_u32_e32 vcc, 0, v0
	s_and_saveexec_b64 s[2:3], vcc
	s_cbranch_execz .LBB10_1023
; %bb.1022:
	s_waitcnt vmcnt(0) lgkmcnt(0)
	flat_store_dwordx2 v[32:33], v[52:53] offset:104
.LBB10_1023:
	s_or_b64 exec, exec, s[2:3]
	s_movk_i32 s2, 0x88
	v_and_b32_e32 v0, 0x88, v62
	v_cmp_eq_u32_e32 vcc, s2, v0
	s_and_saveexec_b64 s[2:3], vcc
	s_cbranch_execz .LBB10_1035
; %bb.1024:
	s_waitcnt vmcnt(0) lgkmcnt(0)
	v_add_u32_e32 v0, -1, v52
	v_and_b32_e32 v0, 7, v0
	v_mad_u64_u32 v[0:1], s[4:5], v0, 24, v[50:51]
	v_lshl_add_u64 v[0:1], v[0:1], 0, 8
	s_mov_b64 s[4:5], 0
	v_mov_b32_e32 v2, 0
	s_movk_i32 s22, 0x270e
                                        ; implicit-def: $sgpr6_sgpr7
	s_branch .LBB10_1029
.LBB10_1025:                            ;   in Loop: Header=BB10_1029 Depth=1
	s_or_b64 exec, exec, s[18:19]
	v_mov_b32_e32 v3, 0
	s_orn2_b64 s[16:17], s[16:17], exec
.LBB10_1026:                            ;   in Loop: Header=BB10_1029 Depth=1
	s_or_b64 exec, exec, s[14:15]
	s_and_b64 s[14:15], s[16:17], exec
	v_mov_b32_e32 v2, v3
.LBB10_1027:                            ;   in Loop: Header=BB10_1029 Depth=1
	s_or_b64 exec, exec, s[12:13]
	s_xor_b64 s[12:13], s[14:15], -1
	s_andn2_b64 s[6:7], s[6:7], exec
	s_and_b64 s[12:13], s[12:13], exec
	s_or_b64 s[6:7], s[6:7], s[12:13]
.LBB10_1028:                            ;   in Loop: Header=BB10_1029 Depth=1
	s_or_b64 exec, exec, s[10:11]
	s_and_b64 s[10:11], exec, s[6:7]
	s_or_b64 s[4:5], s[10:11], s[4:5]
	s_andn2_b64 exec, exec, s[4:5]
	s_cbranch_execz .LBB10_1034
.LBB10_1029:                            ; =>This Inner Loop Header: Depth=1
	flat_load_dwordx2 v[4:5], v[0:1] sc0 sc1
	s_waitcnt vmcnt(0)
	s_or_b64 s[6:7], s[6:7], exec
	s_waitcnt lgkmcnt(0)
	v_cmp_ne_u64_e32 vcc, -1, v[4:5]
	s_and_saveexec_b64 s[10:11], vcc
	s_cbranch_execz .LBB10_1028
; %bb.1030:                             ;   in Loop: Header=BB10_1029 Depth=1
	v_and_b32_e32 v3, 64, v62
	v_cmp_eq_u32_e32 vcc, 0, v3
	s_mov_b64 s[14:15], 0
	s_and_saveexec_b64 s[12:13], vcc
	s_cbranch_execz .LBB10_1027
; %bb.1031:                             ;   in Loop: Header=BB10_1029 Depth=1
	v_add_u32_e32 v3, 1, v2
	v_cmp_lt_i32_e32 vcc, s22, v2
	s_mov_b64 s[16:17], -1
	s_and_saveexec_b64 s[14:15], vcc
	s_cbranch_execz .LBB10_1026
; %bb.1032:                             ;   in Loop: Header=BB10_1029 Depth=1
	s_trap 2
	ds_read_b64 v[2:3], v0
	s_waitcnt lgkmcnt(0)
	flat_load_dword v2, v[2:3] sc0 sc1
	s_waitcnt vmcnt(0) lgkmcnt(0)
	buffer_inv sc0 sc1
	v_cmp_ne_u32_e32 vcc, 0, v2
	s_and_saveexec_b64 s[18:19], vcc
	s_cbranch_execz .LBB10_1025
; %bb.1033:                             ;   in Loop: Header=BB10_1029 Depth=1
	v_or_b32_e32 v62, 64, v62
	s_xor_b64 s[16:17], exec, -1
	ds_write_b32 v0, v2
	s_trap 2
	s_branch .LBB10_1025
.LBB10_1034:
	s_or_b64 exec, exec, s[4:5]
.LBB10_1035:
	s_or_b64 exec, exec, s[2:3]
	v_and_b32_e32 v0, 0x2000, v62
	v_cmp_ne_u32_e32 vcc, 0, v0
	s_and_saveexec_b64 s[2:3], vcc
	s_cbranch_execz .LBB10_1037
; %bb.1036:
	s_trap 2
	ds_read_b64 v[0:1], v0
	v_accvgpr_read_b32 v2, a6
	v_accvgpr_read_b32 v3, a7
	s_waitcnt lgkmcnt(0)
	flat_store_dwordx2 v[2:3], v[0:1] offset:16
.LBB10_1037:
	s_or_b64 exec, exec, s[2:3]
	v_cmp_ne_u32_e32 vcc, 64, v42
	s_and_b64 exec, exec, vcc
	s_cbranch_execz .LBB10_1055
; %bb.1038:
	s_waitcnt vmcnt(0)
	v_cmp_ne_u32_sdwa s[2:3], v43, v42 src0_sel:WORD_0 src1_sel:DWORD
	s_and_saveexec_b64 s[4:5], s[2:3]
	s_xor_b64 s[2:3], exec, s[4:5]
	s_cbranch_execz .LBB10_1053
; %bb.1039:
	v_and_b32_e32 v0, 63, v31
	v_cmp_eq_u32_e32 vcc, 0, v0
	s_and_saveexec_b64 s[4:5], vcc
	s_cbranch_execz .LBB10_1052
; %bb.1040:
	s_mov_b64 s[10:11], exec
	v_mbcnt_lo_u32_b32 v0, s10, 0
	v_mbcnt_hi_u32_b32 v0, s11, v0
	v_cmp_eq_u32_e32 vcc, 0, v0
	s_waitcnt lgkmcnt(0)
	s_and_saveexec_b64 s[6:7], vcc
	s_cbranch_execz .LBB10_1042
; %bb.1041:
	s_bcnt1_i32_b64 s10, s[10:11]
	v_mov_b32_e32 v0, s10
	v_mov_b32_e32 v1, 0
	ds_add_u64 v0, v[0:1]
	s_trap 2
.LBB10_1042:
	s_or_b64 exec, exec, s[6:7]
	v_ashrrev_i32_e32 v0, 31, v42
	v_lshrrev_b32_e32 v0, 26, v0
	s_trap 2
	ds_read_b64 v[2:3], v0
	v_add_u32_e32 v0, v42, v0
	v_ashrrev_i32_e32 v0, 6, v0
	v_accvgpr_read_b32 v4, a20
	v_ashrrev_i32_e32 v1, 31, v0
	v_accvgpr_read_b32 v5, a21
	v_lshl_add_u64 v[0:1], v[4:5], 0, v[0:1]
	s_waitcnt lgkmcnt(0)
	v_cmp_lt_u64_e32 vcc, v[2:3], v[0:1]
	s_and_saveexec_b64 s[6:7], vcc
	s_cbranch_execz .LBB10_1051
; %bb.1043:
	s_mov_b32 s24, 0
	s_mov_b64 s[10:11], 0
                                        ; implicit-def: $sgpr12_sgpr13
                                        ; implicit-def: $sgpr14_sgpr15
	s_branch .LBB10_1045
.LBB10_1044:                            ;   in Loop: Header=BB10_1045 Depth=1
	s_or_b64 exec, exec, s[22:23]
	s_and_b64 s[16:17], exec, s[18:19]
	s_or_b64 s[10:11], s[16:17], s[10:11]
	s_andn2_b64 s[12:13], s[12:13], exec
	s_and_b64 s[16:17], s[14:15], exec
	s_or_b64 s[12:13], s[12:13], s[16:17]
	s_andn2_b64 exec, exec, s[10:11]
	s_cbranch_execz .LBB10_1049
.LBB10_1045:                            ; =>This Inner Loop Header: Depth=1
	s_add_i32 s24, s24, 1
	s_cmpk_lg_i32 s24, 0x2710
	s_cselect_b64 s[16:17], -1, 0
	s_and_b64 vcc, exec, s[16:17]
                                        ; implicit-def: $sgpr22_sgpr23
	s_cbranch_vccnz .LBB10_1047
; %bb.1046:                             ;   in Loop: Header=BB10_1045 Depth=1
	s_trap 2
	ds_read_b64 v[2:3], v0
	s_andn2_b64 s[16:17], s[16:17], exec
	s_mov_b32 s24, 0
	s_mov_b64 s[22:23], -1
	s_waitcnt lgkmcnt(0)
	flat_load_dword v2, v[2:3] sc0 sc1
	s_waitcnt vmcnt(0) lgkmcnt(0)
	buffer_inv sc0 sc1
	v_cmp_eq_u32_e32 vcc, 0, v2
	s_and_b64 s[18:19], vcc, exec
	s_or_b64 s[16:17], s[16:17], s[18:19]
.LBB10_1047:                            ;   in Loop: Header=BB10_1045 Depth=1
	s_andn2_b64 s[14:15], s[14:15], exec
	s_and_b64 s[22:23], s[22:23], exec
	s_mov_b64 s[18:19], -1
	s_or_b64 s[14:15], s[14:15], s[22:23]
	s_and_saveexec_b64 s[22:23], s[16:17]
	s_cbranch_execz .LBB10_1044
; %bb.1048:                             ;   in Loop: Header=BB10_1045 Depth=1
	s_sleep 1
	s_trap 2
	ds_read_b64 v[2:3], v0
	s_andn2_b64 s[14:15], s[14:15], exec
	s_waitcnt lgkmcnt(0)
	v_cmp_ge_u64_e32 vcc, v[2:3], v[0:1]
	s_orn2_b64 s[18:19], vcc, exec
	s_branch .LBB10_1044
.LBB10_1049:
	s_or_b64 exec, exec, s[10:11]
	s_and_saveexec_b64 s[10:11], s[12:13]
	s_xor_b64 s[10:11], exec, s[10:11]
	s_cbranch_execz .LBB10_1051
; %bb.1050:
	v_mov_b32_e32 v0, 1
	ds_write_b32 v0, v0
	s_trap 2
.LBB10_1051:
	s_or_b64 exec, exec, s[6:7]
	;;#ASMSTART
	s_wakeup
	;;#ASMEND
.LBB10_1052:
	s_or_b64 exec, exec, s[4:5]
.LBB10_1053:
	s_andn2_saveexec_b64 s[2:3], s[2:3]
	s_cbranch_execz .LBB10_1055
; %bb.1054:
	s_waitcnt lgkmcnt(0)
	s_barrier
.LBB10_1055:
	s_or_b64 exec, exec, s[0:1]
.LBB10_1056:
	s_andn2_saveexec_b64 s[22:23], s[20:21]
	s_cbranch_execz .LBB10_1058
; %bb.1057:
	s_getpc_b64 s[0:1]
	s_add_u32 s0, s0, __PRETTY_FUNCTION__._ZN10PrimitivesI12hip_bfloat168FuncProdIS0_E12FanSymmetricILi1EELi0E11ProtoSimpleILi1ELi1ELi0ELi4ELi0ELi0EELi0ELb0ELi0ELi0ELi0EEC2EiiPKiS9_PKvPvmhhhP15ncclDevWorkCollP14ncclDevWorkP2pii@rel32@lo+4
	s_addc_u32 s1, s1, __PRETTY_FUNCTION__._ZN10PrimitivesI12hip_bfloat168FuncProdIS0_E12FanSymmetricILi1EELi0E11ProtoSimpleILi1ELi1ELi0ELi4ELi0ELi0EELi0ELb0ELi0ELi0ELi0EEC2EiiPKiS9_PKvPvmhhhP15ncclDevWorkCollP14ncclDevWorkP2pii@rel32@hi+12
	v_mov_b32_e32 v0, s0
	v_mov_b32_e32 v1, s1
	s_getpc_b64 s[2:3]
	s_add_u32 s2, s2, __assert_fail@rel32@lo+4
	s_addc_u32 s3, s3, __assert_fail@rel32@hi+12
	s_swappc_b64 s[30:31], s[2:3]
	; divergent unreachable
.LBB10_1058:
	s_or_b64 exec, exec, s[22:23]
	scratch_load_dword a41, off, s33        ; 4-byte Folded Reload
	scratch_load_dword a40, off, s33 offset:4 ; 4-byte Folded Reload
	scratch_load_dword a39, off, s33 offset:8 ; 4-byte Folded Reload
	;; [unrolled: 1-line block ×18, first 2 shown]
	s_waitcnt lgkmcnt(0)
	scratch_load_dword v45, off, s33 offset:76 ; 4-byte Folded Reload
	scratch_load_dword v44, off, s33 offset:80 ; 4-byte Folded Reload
	;; [unrolled: 1-line block ×6, first 2 shown]
	v_readlane_b32 s30, v63, 35
	v_readlane_b32 s31, v63, 36
	;; [unrolled: 1-line block ×38, first 2 shown]
	s_or_saveexec_b64 s[2:3], -1
	scratch_load_dword v63, off, s33 offset:100 ; 4-byte Folded Reload
	s_mov_b64 exec, s[2:3]
	s_addk_i32 s32, 0xff90
	s_mov_b32 s33, s0
	s_waitcnt vmcnt(0)
	s_setpc_b64 s[30:31]
.Lfunc_end10:
	.size	_ZN12_GLOBAL__N_17runRingI12hip_bfloat168FuncProdIS1_E11ProtoSimpleILi1ELi1ELi0ELi4ELi0ELi0EELi0ELi4ELi0EEEviiP15ncclDevWorkColl, .Lfunc_end10-_ZN12_GLOBAL__N_17runRingI12hip_bfloat168FuncProdIS1_E11ProtoSimpleILi1ELi1ELi0ELi4ELi0ELi0EELi0ELi4ELi0EEEviiP15ncclDevWorkColl
                                        ; -- End function
	.section	.AMDGPU.csdata,"",@progbits
; Function info:
; codeLenInByte = 33292
; NumSgprs: 75
; NumVgprs: 64
; NumAgprs: 42
; TotalNumVgprs: 106
; ScratchSize: 176
; MemoryBound: 1
	.text
	.p2align	2                               ; -- Begin function _Z46ncclDevFunc_Reduce_RING_SIMPLE_Prod_bf16_0_0_4v
	.type	_Z46ncclDevFunc_Reduce_RING_SIMPLE_Prod_bf16_0_0_4v,@function
_Z46ncclDevFunc_Reduce_RING_SIMPLE_Prod_bf16_0_0_4v: ; @_Z46ncclDevFunc_Reduce_RING_SIMPLE_Prod_bf16_0_0_4v
; %bb.0:
	s_waitcnt vmcnt(0) expcnt(0) lgkmcnt(0)
	s_mov_b32 s0, s33
	s_mov_b32 s33, s32
	s_or_saveexec_b64 s[2:3], -1
	scratch_store_dword off, v43, s33 offset:16 ; 4-byte Folded Spill
	s_mov_b64 exec, s[2:3]
	v_writelane_b32 v43, s0, 45
	s_add_i32 s32, s32, 32
	scratch_store_dword off, v40, s33 offset:12 ; 4-byte Folded Spill
	scratch_store_dword off, v41, s33 offset:8 ; 4-byte Folded Spill
	;; [unrolled: 1-line block ×3, first 2 shown]
	scratch_store_dword off, v63, s33       ; 4-byte Folded Spill
	v_writelane_b32 v43, s34, 0
	v_writelane_b32 v43, s35, 1
	;; [unrolled: 1-line block ×44, first 2 shown]
	s_nop 1
	v_writelane_b32 v43, s31, 44
	s_trap 2
	ds_read_b32 v0, v0
	v_mov_b32_e32 v40, v31
	s_mov_b32 s69, s12
	s_mov_b64 s[70:71], s[8:9]
	s_waitcnt lgkmcnt(0)
	v_cmp_gt_i32_e32 vcc, 1, v0
	s_cbranch_vccnz .LBB11_8
; %bb.1:
	s_mov_b32 s76, 0
	v_and_b32_e32 v41, 0x3ff, v40
	s_mov_b64 s[72:73], src_shared_base
	v_mov_b32_e32 v42, 6
	s_branch .LBB11_3
.LBB11_2:                               ;   in Loop: Header=BB11_3 Depth=1
	s_or_b64 exec, exec, s[74:75]
	s_trap 2
	ds_read_b32 v0, v0
	s_add_i32 s76, s76, 1
	s_waitcnt lgkmcnt(0)
	v_cmp_lt_i32_e32 vcc, s76, v0
	s_cbranch_vccz .LBB11_8
.LBB11_3:                               ; =>This Inner Loop Header: Depth=1
	s_trap 2
	ds_read_b32 v0, v0
	s_cmp_eq_u32 s76, 0
	s_cbranch_scc1 .LBB11_6
; %bb.4:                                ;   in Loop: Header=BB11_3 Depth=1
	s_trap 2
	s_waitcnt lgkmcnt(0)
	ds_read_b32 v1, v0
	s_waitcnt lgkmcnt(0)
	v_xor_b32_e32 v1, v1, v0
	v_and_b32_e32 v1, 0xff0000, v1
	v_cmp_eq_u32_e32 vcc, 0, v1
	s_cbranch_vccnz .LBB11_6
; %bb.5:                                ;   in Loop: Header=BB11_3 Depth=1
	s_barrier
	ds_read_b32 v0, v0
.LBB11_6:                               ;   in Loop: Header=BB11_3 Depth=1
	s_waitcnt lgkmcnt(0)
	v_lshlrev_b32_sdwa v1, v42, v0 dst_sel:DWORD dst_unused:UNUSED_PAD src0_sel:DWORD src1_sel:BYTE_2
	v_cmp_lt_u32_e32 vcc, v41, v1
	s_and_saveexec_b64 s[74:75], vcc
	s_cbranch_execz .LBB11_2
; %bb.7:                                ;   in Loop: Header=BB11_3 Depth=1
	s_mov_b64 s[8:9], s[70:71]
	s_mov_b32 s12, s69
	v_mov_b32_e32 v31, v40
	v_mov_b32_e32 v0, v41
	;; [unrolled: 1-line block ×3, first 2 shown]
	s_getpc_b64 s[0:1]
	s_add_u32 s0, s0, _ZN12_GLOBAL__N_17runRingI12hip_bfloat168FuncProdIS1_E11ProtoSimpleILi1ELi1ELi0ELi4ELi0ELi0EELi0ELi4ELi0EEEviiP15ncclDevWorkColl@rel32@lo+4
	s_addc_u32 s1, s1, _ZN12_GLOBAL__N_17runRingI12hip_bfloat168FuncProdIS1_E11ProtoSimpleILi1ELi1ELi0ELi4ELi0ELi0EELi0ELi4ELi0EEEviiP15ncclDevWorkColl@rel32@hi+12
	s_swappc_b64 s[30:31], s[0:1]
	s_branch .LBB11_2
.LBB11_8:
	scratch_load_dword v63, off, s33        ; 4-byte Folded Reload
	scratch_load_dword v42, off, s33 offset:4 ; 4-byte Folded Reload
	scratch_load_dword v41, off, s33 offset:8 ; 4-byte Folded Reload
	;; [unrolled: 1-line block ×3, first 2 shown]
	v_readlane_b32 s30, v43, 43
	v_readlane_b32 s31, v43, 44
	;; [unrolled: 1-line block ×46, first 2 shown]
	s_or_saveexec_b64 s[2:3], -1
	scratch_load_dword v43, off, s33 offset:16 ; 4-byte Folded Reload
	s_mov_b64 exec, s[2:3]
	s_addk_i32 s32, 0xffe0
	s_mov_b32 s33, s0
	s_waitcnt vmcnt(0)
	s_setpc_b64 s[30:31]
.Lfunc_end11:
	.size	_Z46ncclDevFunc_Reduce_RING_SIMPLE_Prod_bf16_0_0_4v, .Lfunc_end11-_Z46ncclDevFunc_Reduce_RING_SIMPLE_Prod_bf16_0_0_4v
                                        ; -- End function
	.section	.AMDGPU.csdata,"",@progbits
; Function info:
; codeLenInByte = 1104
; NumSgprs: 83
; NumVgprs: 64
; NumAgprs: 42
; TotalNumVgprs: 106
; ScratchSize: 208
; MemoryBound: 0
	.text
	.p2align	2                               ; -- Begin function _ZN12_GLOBAL__N_17runRingI12hip_bfloat168FuncProdIS1_E11ProtoSimpleILi1ELi1ELi0ELi4ELi0ELi0EELi0ELi4ELi1EEEviiP15ncclDevWorkColl
	.type	_ZN12_GLOBAL__N_17runRingI12hip_bfloat168FuncProdIS1_E11ProtoSimpleILi1ELi1ELi0ELi4ELi0ELi0EELi0ELi4ELi1EEEviiP15ncclDevWorkColl,@function
_ZN12_GLOBAL__N_17runRingI12hip_bfloat168FuncProdIS1_E11ProtoSimpleILi1ELi1ELi0ELi4ELi0ELi0EELi0ELi4ELi1EEEviiP15ncclDevWorkColl: ; @_ZN12_GLOBAL__N_17runRingI12hip_bfloat168FuncProdIS1_E11ProtoSimpleILi1ELi1ELi0ELi4ELi0ELi0EELi0ELi4ELi1EEEviiP15ncclDevWorkColl
; %bb.0:
	s_waitcnt vmcnt(0) expcnt(0) lgkmcnt(0)
	s_mov_b32 s0, s33
	s_mov_b32 s33, s32
	s_or_saveexec_b64 s[2:3], -1
	scratch_store_dword off, v63, s33 offset:432 ; 4-byte Folded Spill
	s_mov_b64 exec, s[2:3]
	v_writelane_b32 v63, s0, 43
	s_addk_i32 s32, 0x1c0
	scratch_store_dword off, v40, s33 offset:184 ; 4-byte Folded Spill
	scratch_store_dword off, v41, s33 offset:180 ; 4-byte Folded Spill
	;; [unrolled: 1-line block ×46, first 2 shown]
	scratch_store_dword off, a63, s33       ; 4-byte Folded Spill
	v_writelane_b32 v63, s34, 0
	v_writelane_b32 v63, s35, 1
	;; [unrolled: 1-line block ×42, first 2 shown]
	s_nop 1
	v_writelane_b32 v63, s31, 42
	scratch_store_dword off, v31, s33 offset:292 ; 4-byte Folded Spill
	scratch_store_dword off, v1, s33 offset:280 ; 4-byte Folded Spill
	s_trap 2
	ds_read_b64 v[8:9], v0
	ds_read_b32 v6, v0
                                        ; implicit-def: $agpr16_agpr17
                                        ; implicit-def: $vgpr14_vgpr15
                                        ; kill: killed $vgpr14_vgpr15
	s_waitcnt lgkmcnt(1)
	v_ashrrev_i32_e32 v5, 31, v9
	v_mov_b32_e32 v4, v9
	v_lshlrev_b64 v[4:5], 2, v[4:5]
	v_lshl_add_u64 v[12:13], v[8:9], 0, v[4:5]
	v_add_co_u32_e32 v12, vcc, -4, v12
	flat_load_ushort v11, v[2:3] offset:8
	flat_load_dwordx2 v[4:5], v[2:3]
	v_addc_co_u32_e32 v13, vcc, -1, v13, vcc
	flat_load_dword v1, v[12:13]
                                        ; implicit-def: $vgpr12_vgpr13
	s_waitcnt vmcnt(0) lgkmcnt(0)
	v_mov_b32_e32 v10, v5
	v_cmp_ne_u32_sdwa s[0:1], v4, v6 src0_sel:BYTE_0 src1_sel:DWORD
	s_and_saveexec_b64 s[2:3], s[0:1]
	s_xor_b64 s[0:1], exec, s[2:3]
	s_cbranch_execz .LBB12_6
; %bb.1:
	v_not_b32_sdwa v5, v4 dst_sel:DWORD dst_unused:UNUSED_PAD src0_sel:BYTE_0
	v_cmp_ne_u32_sdwa s[2:3], v4, v6 src0_sel:BYTE_1 src1_sel:DWORD
                                        ; implicit-def: $vgpr12_vgpr13
                                        ; implicit-def: $agpr16_agpr17
                                        ; implicit-def: $vgpr14_vgpr15
                                        ; kill: killed $vgpr14_vgpr15
	s_and_saveexec_b64 s[4:5], s[2:3]
	s_xor_b64 s[2:3], exec, s[4:5]
	s_cbranch_execz .LBB12_3
; %bb.2:
	flat_load_dwordx4 v[12:15], v[2:3] offset:72
	flat_load_dwordx2 v[16:17], v[2:3] offset:96
	v_add_u32_e32 v4, v6, v5
	v_ashrrev_i32_e32 v5, 31, v4
	s_waitcnt vmcnt(0) lgkmcnt(0)
	v_mul_lo_u32 v5, v14, v5
	v_mad_u64_u32 v[6:7], s[4:5], v14, v4, v[12:13]
	v_mul_lo_u32 v4, v15, v4
	v_add3_u32 v7, v4, v7, v5
	v_accvgpr_write_b32 a17, v15
	v_lshrrev_b64 v[12:13], 13, v[16:17]
	scratch_store_dwordx2 off, v[6:7], s33 offset:272 ; 8-byte Folded Spill
	v_accvgpr_write_b32 a16, v14
                                        ; implicit-def: $vgpr4
                                        ; implicit-def: $vgpr5
.LBB12_3:
	s_andn2_saveexec_b64 s[2:3], s[2:3]
	s_cbranch_execz .LBB12_5
; %bb.4:
	flat_load_dwordx4 v[12:15], v[2:3] offset:72
	flat_load_dwordx4 v[16:19], v[2:3] offset:88
	v_add_u32_sdwa v4, v4, v5 dst_sel:DWORD dst_unused:UNUSED_PAD src0_sel:BYTE_1 src1_sel:DWORD
	v_ashrrev_i32_e32 v5, 31, v4
	s_waitcnt vmcnt(0) lgkmcnt(0)
	v_mul_lo_u32 v5, v14, v5
	v_mad_u64_u32 v[6:7], s[4:5], v14, v4, v[12:13]
	v_mul_lo_u32 v4, v15, v4
	v_accvgpr_write_b32 a16, v16
	v_add3_u32 v7, v4, v7, v5
	v_accvgpr_write_b32 a17, v17
	v_lshrrev_b32_e32 v12, 2, v19
	scratch_store_dwordx2 off, v[6:7], s33 offset:272 ; 8-byte Folded Spill
.LBB12_5:
	s_or_b64 exec, exec, s[2:3]
.LBB12_6:
	s_andn2_saveexec_b64 s[0:1], s[0:1]
	s_cbranch_execz .LBB12_8
; %bb.7:
	flat_load_dwordx2 v[4:5], v[2:3] offset:96
	flat_load_dwordx2 a[16:17], v[2:3] offset:72
	s_waitcnt vmcnt(0) lgkmcnt(0)
	v_lshlrev_b64 v[12:13], 8, v[4:5]
	v_mov_b64_e32 v[4:5], 0
	scratch_store_dwordx2 off, v[4:5], s33 offset:272 ; 8-byte Folded Spill
.LBB12_8:
	s_or_b64 exec, exec, s[0:1]
	s_trap 2
	ds_read_b64 v[4:5], v0
	s_waitcnt lgkmcnt(0)
	v_cmp_ne_u32_e32 vcc, -1, v4
	s_nop 1
	v_cndmask_b32_e64 v9, 0, 1, vcc
	v_cmp_ne_u32_e32 vcc, -1, v5
	scratch_load_dword v5, off, s33 offset:280 ; 4-byte Folded Reload
	s_nop 0
	v_addc_co_u32_e64 v13, s[0:1], 0, v9, vcc
	v_lshlrev_b32_e32 v4, 1, v13
	s_waitcnt vmcnt(0)
	v_cmp_le_i32_e64 s[0:1], v4, v5
	s_and_saveexec_b64 s[2:3], s[0:1]
	s_xor_b64 s[24:25], exec, s[2:3]
	s_cbranch_execz .LBB12_2063
; %bb.9:
	flat_load_dwordx4 v[4:7], v[2:3] offset:16
	flat_load_dwordx2 v[14:15], v[2:3] offset:104
	s_trap 2
	s_load_dword s0, s[8:9], 0x0
	v_mov_b32_e32 v2, 0
	s_waitcnt lgkmcnt(0)
	s_cmp_lt_u32 s12, s0
	s_cselect_b32 s0, 12, 18
	s_add_u32 s0, s8, s0
	s_addc_u32 s1, s9, 0
	global_load_ushort v2, v2, s[0:1]
	v_cmp_ge_i32_e64 s[0:1], v0, v9
	s_waitcnt vmcnt(0)
	scratch_store_dword off, v2, s33 offset:304 ; 4-byte Folded Spill
	ds_read_b32 v2, v0
	s_waitcnt lgkmcnt(0)
	v_readfirstlane_b32 s6, v2
	v_mov_b32_e32 v2, 4
	s_and_saveexec_b64 s[2:3], s[0:1]
	s_cbranch_execz .LBB12_19
; %bb.10:
	v_cmp_le_u32_e64 s[0:1], v13, v0
                                        ; implicit-def: $vgpr2
	s_and_saveexec_b64 s[4:5], s[0:1]
	s_xor_b64 s[0:1], exec, s[4:5]
	s_cbranch_execz .LBB12_16
; %bb.11:
	scratch_load_dword v3, off, s33 offset:280 ; 4-byte Folded Reload
	v_cndmask_b32_e64 v2, 0, 1, vcc
                                        ; implicit-def: $sgpr7
	s_waitcnt vmcnt(0)
	v_sub_u32_e32 v2, v3, v2
	v_cmp_ge_u32_e32 vcc, v0, v2
	s_and_saveexec_b64 s[4:5], vcc
	s_xor_b64 s[4:5], exec, s[4:5]
; %bb.12:
	s_mov_b32 s7, 16
                                        ; implicit-def: $vgpr13
; %bb.13:
	s_or_saveexec_b64 s[4:5], s[4:5]
	v_mov_b32_e32 v2, s7
	s_xor_b64 exec, exec, s[4:5]
	s_cbranch_execz .LBB12_15
; %bb.14:
	scratch_load_dword v2, off, s33 offset:280 ; 4-byte Folded Reload
	s_waitcnt vmcnt(0)
	v_sub_u32_e32 v2, v2, v13
	v_cmp_ge_i32_e32 vcc, v0, v2
	s_nop 1
	v_cndmask_b32_e64 v2, 0, 1, vcc
	v_lshlrev_b32_e32 v2, 5, v2
.LBB12_15:
	s_or_b64 exec, exec, s[4:5]
.LBB12_16:
	s_andn2_saveexec_b64 s[0:1], s[0:1]
; %bb.17:
	v_mov_b32_e32 v2, 8
; %bb.18:
	s_or_b64 exec, exec, s[0:1]
.LBB12_19:
	s_or_b64 exec, exec, s[2:3]
	v_accvgpr_write_b32 a15, v2
	v_and_b32_e32 v2, 36, v2
	v_cmp_ne_u32_e32 vcc, 0, v2
	v_mov_b32_e32 v2, -1
	s_and_saveexec_b64 s[0:1], vcc
	s_cbranch_execz .LBB12_21
; %bb.20:
	s_trap 2
	ds_read_b32 v2, v0
.LBB12_21:
	s_or_b64 exec, exec, s[0:1]
	v_accvgpr_read_b32 v3, a15
	v_and_b32_e32 v3, 24, v3
	v_cmp_ne_u32_e64 s[0:1], 0, v3
	s_and_saveexec_b64 s[2:3], s[0:1]
	s_cbranch_execz .LBB12_23
; %bb.22:
	s_trap 2
	s_waitcnt lgkmcnt(0)
	ds_read_b32 v2, v0
.LBB12_23:
	s_or_b64 exec, exec, s[2:3]
	v_lshrrev_b64 v[16:17], 31, v[10:11]
	v_and_b32_e32 v11, 3, v16
	v_mov_b64_e32 v[16:17], 0
	v_accvgpr_write_b32 a25, v17
	s_waitcnt lgkmcnt(0)
	v_ashrrev_i32_e32 v3, 31, v2
                                        ; implicit-def: $vgpr18_vgpr19
	v_accvgpr_write_b32 a24, v16
                                        ; kill: killed $vgpr18_vgpr19
                                        ; implicit-def: $vgpr18
	scratch_store_dwordx2 off, v[18:19], s33 offset:256 ; 8-byte Folded Spill
                                        ; implicit-def: $agpr34_agpr35
	scratch_store_dwordx2 off, v[16:17], s33 offset:284 ; 8-byte Folded Spill
                                        ; implicit-def: $agpr32_agpr33
                                        ; implicit-def: $agpr28_agpr29
	s_and_saveexec_b64 s[0:1], vcc
	s_cbranch_execz .LBB12_33
; %bb.24:
	s_trap 2
	ds_read_b64 v[16:17], v0
	v_and_b32_e32 v13, 0xffff, v11
	s_movk_i32 s2, 0xa8
	s_waitcnt lgkmcnt(0)
	v_lshl_add_u64 v[16:17], v[2:3], 3, v[16:17]
	flat_load_dwordx2 v[16:17], v[16:17]
	s_waitcnt vmcnt(0) lgkmcnt(0)
	v_mad_u64_u32 v[16:17], s[2:3], v13, s2, v[16:17]
	flat_load_dword v13, v[16:17] offset:640
	s_mov_b64 s[2:3], 0x1f8
	v_lshl_add_u64 v[20:21], v[16:17], 0, s[2:3]
                                        ; implicit-def: $vgpr16_vgpr17
                                        ; kill: killed $vgpr16_vgpr17
	s_waitcnt vmcnt(0) lgkmcnt(0)
	v_cmp_eq_u32_e32 vcc, 1, v13
	s_and_saveexec_b64 s[2:3], vcc
	s_cbranch_execz .LBB12_26
; %bb.25:
	flat_load_dwordx2 v[18:19], v[20:21] offset:144
	v_accvgpr_read_b32 v13, a15
	v_or_b32_e32 v13, 0x2000, v13
	v_accvgpr_write_b32 a15, v13
	s_waitcnt vmcnt(0) lgkmcnt(0)
	flat_load_dwordx2 v[16:17], v[18:19]
	s_trap 2
	scratch_store_dwordx2 off, v[18:19], s33 offset:404 ; 8-byte Folded Spill
	s_waitcnt vmcnt(0) lgkmcnt(0)
	ds_write_b64 v0, v[16:17]
	flat_load_dwordx2 v[16:17], v[18:19] offset:8
	s_waitcnt vmcnt(0) lgkmcnt(0)
	ds_write_b64 v0, v[16:17]
	flat_load_dwordx2 v[16:17], v[18:19] offset:16
	s_waitcnt vmcnt(0) lgkmcnt(0)
	ds_write_b64 v0, v[16:17]
.LBB12_26:
	s_or_b64 exec, exec, s[2:3]
	flat_load_dwordx2 v[18:19], v[20:21] offset:104
	v_accvgpr_read_b32 v13, a15
	v_and_b32_e32 v13, 32, v13
	v_cmp_ne_u32_e32 vcc, 0, v13
	scratch_store_dwordx2 off, v[20:21], s33 offset:284 ; 8-byte Folded Spill
                                        ; implicit-def: $agpr28_agpr29
	s_and_saveexec_b64 s[2:3], vcc
	s_cbranch_execz .LBB12_28
; %bb.27:
	scratch_load_dwordx2 v[16:17], off, s33 offset:284 ; 8-byte Folded Reload
	s_waitcnt vmcnt(0)
	flat_load_dwordx2 v[16:17], v[16:17] offset:56
	s_waitcnt vmcnt(0) lgkmcnt(0)
	v_accvgpr_write_b32 a29, v17
	v_accvgpr_write_b32 a28, v16
	flat_store_dwordx2 v[16:17], v[18:19] sc0 sc1
.LBB12_28:
	s_or_b64 exec, exec, s[2:3]
	v_accvgpr_read_b32 v13, a15
	v_and_b32_e32 v13, 4, v13
	v_mov_b64_e32 v[16:17], 0
	s_waitcnt vmcnt(0) lgkmcnt(0)
	v_accvgpr_write_b32 a27, v19
	v_cmp_ne_u32_e32 vcc, 0, v13
	v_accvgpr_write_b32 a26, v18
	v_accvgpr_write_b32 a25, v17
	;; [unrolled: 1-line block ×3, first 2 shown]
                                        ; implicit-def: $vgpr16
	scratch_store_dwordx2 off, v[16:17], s33 offset:256 ; 8-byte Folded Spill
                                        ; implicit-def: $agpr34_agpr35
                                        ; implicit-def: $agpr32_agpr33
	s_and_saveexec_b64 s[2:3], vcc
	s_cbranch_execz .LBB12_32
; %bb.29:
	v_accvgpr_read_b32 v13, a15
	v_and_b32_e32 v13, 0x800, v13
	v_cmp_eq_u32_e32 vcc, 0, v13
	s_and_saveexec_b64 s[4:5], vcc
	s_cbranch_execz .LBB12_31
; %bb.30:
	s_trap 2
	scratch_load_dwordx2 v[16:17], off, s33 offset:284 ; 8-byte Folded Reload
	s_waitcnt vmcnt(0)
	ds_write_b64 v0, v[16:17]
.LBB12_31:
	s_or_b64 exec, exec, s[4:5]
	scratch_load_dwordx2 v[16:17], off, s33 offset:284 ; 8-byte Folded Reload
	v_accvgpr_read_b32 v20, a26
	v_accvgpr_read_b32 v21, a27
	s_waitcnt vmcnt(0)
	flat_load_dwordx2 v[18:19], v[16:17] offset:48
	s_waitcnt vmcnt(0) lgkmcnt(0)
	flat_load_dwordx2 a[34:35], v[18:19] sc0 sc1
	flat_load_dword v13, v[16:17] offset:72
	v_accvgpr_write_b32 a29, v19
	v_accvgpr_write_b32 a28, v18
	flat_load_dwordx2 v[18:19], v[16:17] offset:96
	flat_load_dwordx2 a[32:33], v[16:17] offset:16
	v_accvgpr_read_b32 v17, a15
	v_or_b32_e32 v16, 0x100, v17
	s_waitcnt vmcnt(0) lgkmcnt(0)
	v_ashrrev_i32_e32 v22, 1, v13
	scratch_store_dwordx2 off, v[22:23], s33 offset:256 ; 8-byte Folded Spill
	v_cmp_eq_u64_e32 vcc, 0, v[18:19]
	v_accvgpr_write_b32 a27, v21
	v_accvgpr_write_b32 a26, v20
	v_cndmask_b32_e32 v17, v16, v17, vcc
	v_accvgpr_write_b32 a25, v19
	v_accvgpr_write_b32 a24, v18
	;; [unrolled: 1-line block ×3, first 2 shown]
.LBB12_32:
	s_or_b64 exec, exec, s[2:3]
.LBB12_33:
	s_or_b64 exec, exec, s[0:1]
	v_accvgpr_read_b32 v13, a15
	v_and_b32_e32 v13, 24, v13
	v_cmp_ne_u32_e32 vcc, 0, v13
                                        ; implicit-def: $agpr40_agpr41
	s_and_saveexec_b64 s[0:1], vcc
	s_cbranch_execz .LBB12_41
; %bb.34:
	s_trap 2
	ds_read_b64 v[16:17], v0
	v_and_b32_e32 v11, 0xffff, v11
	s_movk_i32 s2, 0xa8
                                        ; implicit-def: $agpr40_agpr41
	s_waitcnt lgkmcnt(0)
	v_lshl_add_u64 v[2:3], v[2:3], 3, v[16:17]
	flat_load_dwordx2 v[2:3], v[2:3]
	s_waitcnt vmcnt(0) lgkmcnt(0)
	v_mad_u64_u32 v[2:3], s[2:3], v11, s2, v[2:3]
	flat_load_dwordx4 v[16:19], v[2:3] offset:96
	s_waitcnt vmcnt(0) lgkmcnt(0)
	v_cmp_eq_u64_e32 vcc, 0, v[16:17]
	scratch_store_dwordx2 off, v[2:3], s33 offset:284 ; 8-byte Folded Spill
	v_accvgpr_read_b32 v3, a15
	v_or_b32_e32 v2, 0x100, v3
	v_cndmask_b32_e32 v3, v2, v3, vcc
	v_accvgpr_write_b32 a27, v19
	v_and_b32_e32 v2, 16, v3
	v_accvgpr_write_b32 a26, v18
	v_accvgpr_write_b32 a25, v17
	;; [unrolled: 1-line block ×4, first 2 shown]
	v_cmp_ne_u32_e32 vcc, 0, v2
	s_and_saveexec_b64 s[2:3], vcc
	s_cbranch_execz .LBB12_36
; %bb.35:
	scratch_load_dwordx2 v[2:3], off, s33 offset:284 ; 8-byte Folded Reload
	s_waitcnt vmcnt(0)
	flat_load_dwordx2 a[40:41], v[2:3] offset:120
	flat_load_dwordx2 a[28:29], v[2:3] offset:48
	;; [unrolled: 1-line block ×3, first 2 shown]
.LBB12_36:
	s_or_b64 exec, exec, s[2:3]
	v_accvgpr_read_b32 v2, a15
	v_and_b32_e32 v2, 8, v2
	v_cmp_ne_u32_e32 vcc, 0, v2
	s_and_saveexec_b64 s[2:3], vcc
	s_cbranch_execz .LBB12_40
; %bb.37:
	v_accvgpr_read_b32 v2, a15
	v_and_b32_e32 v2, 0x800, v2
	v_cmp_eq_u32_e32 vcc, 0, v2
	s_and_saveexec_b64 s[4:5], vcc
	s_cbranch_execz .LBB12_39
; %bb.38:
	s_trap 2
	scratch_load_dwordx2 v[2:3], off, s33 offset:284 ; 8-byte Folded Reload
	s_waitcnt vmcnt(0)
	ds_write_b64 v0, v[2:3]
.LBB12_39:
	s_or_b64 exec, exec, s[4:5]
	scratch_load_dwordx2 v[16:17], off, s33 offset:284 ; 8-byte Folded Reload
	s_waitcnt vmcnt(0)
	flat_load_dwordx2 v[2:3], v[16:17] offset:56
	s_waitcnt vmcnt(0) lgkmcnt(0)
	v_accvgpr_write_b32 a29, v3
	v_accvgpr_write_b32 a28, v2
	flat_load_dwordx2 a[34:35], v[2:3] sc0 sc1
	s_nop 0
	flat_load_dword v2, v[16:17] offset:72
	flat_load_dwordx2 a[32:33], v[16:17] offset:16
	s_waitcnt vmcnt(0) lgkmcnt(0)
	v_ashrrev_i32_e32 v2, 1, v2
	scratch_store_dwordx2 off, v[2:3], s33 offset:256 ; 8-byte Folded Spill
.LBB12_40:
	s_or_b64 exec, exec, s[2:3]
.LBB12_41:
	s_or_b64 exec, exec, s[0:1]
	v_cmp_eq_u32_e64 s[0:1], 0, v0
	s_and_saveexec_b64 s[2:3], s[0:1]
	s_cbranch_execz .LBB12_43
; %bb.42:
	v_mov_b32_e32 v2, v6
	v_mov_b32_e32 v3, v7
	ds_write2_b64 v0, v[2:3], v[4:5] offset1:1
	v_mov_b32_e32 v2, 0
	v_mov_b32_e32 v3, v2
	s_trap 2
	ds_write_b64 v0, v[2:3]
	ds_write_b64 v0, v[14:15]
.LBB12_43:
	s_or_b64 exec, exec, s[2:3]
	v_mov_b32_e32 v3, 0
	s_ashr_i32 s2, s6, 31
	v_and_b32_e32 v2, 0x1fffff00, v12
	v_accvgpr_write_b32 a39, v3
	s_lshr_b32 s2, s2, 29
	v_accvgpr_write_b32 a38, v2
	s_add_i32 s6, s6, s2
	v_bfe_u32 v2, v10, 1, 30
	s_ashr_i32 s68, s6, 4
	v_cmp_ne_u32_e32 vcc, v1, v2
                                        ; implicit-def: $agpr36_agpr37
	s_and_saveexec_b64 s[2:3], vcc
	s_xor_b64 s[26:27], exec, s[2:3]
	s_cbranch_execz .LBB12_1825
; %bb.44:
	v_cmp_ne_u32_e32 vcc, v8, v2
	v_accvgpr_read_b32 v2, a16
	v_accvgpr_read_b32 v3, a17
	v_cmp_ne_u64_e64 s[2:3], 0, v[2:3]
                                        ; implicit-def: $agpr36_agpr37
	s_and_saveexec_b64 s[4:5], vcc
	s_xor_b64 s[28:29], exec, s[4:5]
	s_cbranch_execz .LBB12_938
; %bb.45:
	v_mov_b64_e32 v[2:3], 0
	v_accvgpr_write_b32 a37, v3
	v_accvgpr_write_b32 a36, v2
	s_and_saveexec_b64 s[30:31], s[2:3]
	s_cbranch_execz .LBB12_937
; %bb.46:
	scratch_load_dword v2, off, s33 offset:280 ; 4-byte Folded Reload
	scratch_load_dwordx2 v[4:5], off, s33 offset:256 ; 8-byte Folded Reload
	s_lshr_b32 s4, s68, 27
	s_add_i32 s4, s68, s4
	s_ashr_i32 s69, s4, 5
	s_mov_b64 s[36:37], 0x1000
	s_add_i32 s16, s33, 0xe0
	s_mov_b64 s[38:39], 0x400
	s_mov_b64 s[42:43], 0x800
	;; [unrolled: 1-line block ×3, first 2 shown]
	v_mov_b32_e32 v31, 0
	v_mov_b64_e32 v[42:43], 0
	s_waitcnt vmcnt(0)
	v_mov_b32_e32 v5, v31
	v_accvgpr_write_b32 a36, v42
	s_mov_b64 s[40:41], 0
	s_movk_i32 s70, 0x270e
	s_movk_i32 s71, 0x108
	v_mov_b32_e32 v55, 1
	s_mov_b32 s72, 0x7f800000
	s_movk_i32 s73, 0x7fff
	s_mov_b32 s74, 0xffff0000
	v_mov_b32_e32 v40, 0x80
	v_accvgpr_write_b32 a37, v43
	v_cmp_ge_i32_e64 s[4:5], v0, v2
	v_ashrrev_i32_e32 v1, 31, v4
	scratch_store_dwordx2 off, v[0:1], s33 offset:296 ; 8-byte Folded Spill
	s_trap 2
	scratch_load_dword v1, off, s33 offset:304 ; 4-byte Folded Reload
	v_cmp_eq_u32_e32 vcc, 64, v2
	v_cmp_ne_u32_e64 s[6:7], 64, v2
	v_lshrrev_b32_e32 v4, 6, v2
	v_lshlrev_b32_e32 v53, 10, v4
	v_lshlrev_b32_e32 v54, 7, v4
	v_accvgpr_write_b32 a2, v4
	v_accvgpr_write_b32 a3, v5
	s_waitcnt vmcnt(0)
	v_cmp_ne_u32_sdwa s[34:35], v1, v2 src0_sel:WORD_0 src1_sel:DWORD
	scratch_load_dword v1, off, s33 offset:292 ; 4-byte Folded Reload
	s_waitcnt vmcnt(0)
	v_and_b32_e32 v1, 63, v1
	v_cmp_eq_u32_e64 s[10:11], 0, v1
	v_ashrrev_i32_e32 v1, 31, v0
	v_lshrrev_b32_e32 v1, 26, v1
	v_add_u32_e32 v1, v0, v1
	v_and_b32_e32 v2, 0xffffffc0, v1
	v_sub_u32_e32 v48, v0, v2
	v_ashrrev_i32_e32 v49, 6, v1
	v_lshlrev_b32_e32 v0, 4, v48
	v_lshl_add_u32 v0, v49, 12, v0
	v_ashrrev_i32_e32 v1, 31, v0
	scratch_store_dwordx2 off, v[0:1], s33 offset:348 ; 8-byte Folded Spill
	v_mov_b32_e32 v0, 0xfffff000
	v_lshl_add_u32 v0, v4, 12, v0
	v_ashrrev_i32_e32 v1, 31, v0
	scratch_store_dwordx2 off, v[0:1], s33 offset:264 ; 8-byte Folded Spill
	v_lshl_add_u64 v[0:1], v[0:1], 0, s[36:37]
	v_accvgpr_write_b32 a11, v1
	v_accvgpr_write_b32 a10, v0
	v_mov_b32_e32 v0, s16
	s_add_i32 s16, s33, 0xc0
	v_add_u32_e32 v50, 16, v0
	v_mov_b32_e32 v0, s16
	v_add_u32_e32 v51, 16, v0
	v_add_u32_e32 v0, 0xfffffc00, v53
	v_ashrrev_i32_e32 v1, 31, v0
	scratch_store_dwordx2 off, v[0:1], s33 offset:412 ; 8-byte Folded Spill
	v_lshl_add_u64 v[0:1], v[0:1], 0, s[38:39]
	scratch_store_dwordx2 off, v[0:1], s33 offset:420 ; 8-byte Folded Spill
	s_waitcnt lgkmcnt(0)
	v_accvgpr_read_b32 v0, a40
	v_accvgpr_read_b32 v1, a41
	v_cmp_eq_u64_e64 s[16:17], 0, v[0:1]
	v_mov_b32_e32 v0, 0xfffff800
	v_lshl_add_u32 v0, v4, 11, v0
	v_ashrrev_i32_e32 v1, 31, v0
	v_accvgpr_write_b32 a49, v1
	v_accvgpr_write_b32 a48, v0
	v_lshl_add_u64 v[0:1], v[0:1], 0, s[42:43]
	v_accvgpr_write_b32 a51, v1
	v_accvgpr_write_b32 a50, v0
	v_add_u32_e32 v0, 0xffffff80, v54
	v_ashrrev_i32_e32 v1, 31, v0
	scratch_store_dwordx2 off, v[0:1], s33 offset:356 ; 8-byte Folded Spill
	v_lshl_add_u64 v[0:1], v[0:1], 0, s[44:45]
	scratch_store_dwordx2 off, v[0:1], s33 offset:364 ; 8-byte Folded Spill
	v_accvgpr_read_b32 v0, a16
	v_accvgpr_read_b32 v2, a38
	v_cmp_le_i32_e64 s[12:13], v48, v9
	v_cmp_lt_i32_e64 s[14:15], v48, v9
	s_xor_b64 s[46:47], vcc, -1
	v_accvgpr_read_b32 v1, a17
	v_accvgpr_read_b32 v3, a39
	scratch_store_dword off, v48, s33 offset:384 ; 4-byte Folded Spill
	scratch_store_dword off, v49, s33 offset:400 ; 4-byte Folded Spill
	;; [unrolled: 1-line block ×6, first 2 shown]
	s_branch .LBB12_49
.LBB12_47:                              ;   in Loop: Header=BB12_49 Depth=1
	s_or_b64 exec, exec, s[18:19]
.LBB12_48:                              ;   in Loop: Header=BB12_49 Depth=1
	s_or_b64 exec, exec, s[20:21]
	v_accvgpr_read_b32 v2, a38
	v_accvgpr_read_b32 v3, a39
	;; [unrolled: 1-line block ×3, first 2 shown]
	v_lshl_add_u64 v[42:43], v[42:43], 0, v[2:3]
	v_accvgpr_read_b32 v1, a17
	v_cmp_ge_u64_e32 vcc, v[42:43], v[0:1]
	s_or_b64 s[40:41], vcc, s[40:41]
	s_andn2_b64 exec, exec, s[40:41]
	s_cbranch_execz .LBB12_936
.LBB12_49:                              ; =>This Loop Header: Depth=1
                                        ;     Child Loop BB12_58 Depth 2
                                        ;     Child Loop BB12_84 Depth 2
	;; [unrolled: 1-line block ×5, first 2 shown]
                                        ;       Child Loop BB12_520 Depth 3
                                        ;       Child Loop BB12_557 Depth 3
                                        ;     Child Loop BB12_634 Depth 2
                                        ;     Child Loop BB12_837 Depth 2
                                        ;       Child Loop BB12_838 Depth 3
                                        ;       Child Loop BB12_847 Depth 3
                                        ;     Child Loop BB12_868 Depth 2
                                        ;     Child Loop BB12_893 Depth 2
	;; [unrolled: 1-line block ×3, first 2 shown]
	v_sub_co_u32_e32 v0, vcc, v0, v42
	v_mov_b32_e32 v4, 0
	s_nop 0
	v_subb_co_u32_e32 v1, vcc, v1, v43, vcc
	v_cmp_lt_u64_e32 vcc, v[2:3], v[0:1]
	s_nop 1
	v_cndmask_b32_e64 v45, v1, 0, vcc
	v_cndmask_b32_e32 v44, v0, v2, vcc
	v_add_u32_e32 v0, 15, v44
	v_cmp_eq_u64_e32 vcc, 0, v[44:45]
	v_and_b32_e32 v0, 0x3ffffff0, v0
	s_or_b64 s[48:49], s[4:5], vcc
	v_max_i32_e32 v47, s69, v0
	s_xor_b64 s[18:19], s[48:49], -1
	s_and_saveexec_b64 s[50:51], s[18:19]
	s_cbranch_execz .LBB12_886
; %bb.50:                               ;   in Loop: Header=BB12_49 Depth=1
	s_and_saveexec_b64 s[18:19], s[0:1]
	s_cbranch_execz .LBB12_52
; %bb.51:                               ;   in Loop: Header=BB12_49 Depth=1
	s_trap 2
	scratch_load_dwordx2 v[2:3], off, s33 offset:272 ; 8-byte Folded Reload
	ds_read_b64 v[0:1], v0
	v_mov_b32_e32 v30, v31
	s_waitcnt vmcnt(0) lgkmcnt(0)
	v_lshl_add_u64 v[0:1], v[2:3], 1, v[0:1]
	v_lshl_add_u64 v[0:1], v[42:43], 1, v[0:1]
	ds_write_b64 v0, v[0:1]
	ds_write_b64 v0, v[30:31]
.LBB12_52:                              ;   in Loop: Header=BB12_49 Depth=1
	s_or_b64 exec, exec, s[18:19]
	v_accvgpr_read_b32 v0, a15
	v_and_b32_e32 v0, 12, v0
	v_cmp_ne_u32_e32 vcc, 0, v0
	v_accvgpr_read_b32 v0, a24
	v_accvgpr_read_b32 v1, a25
	;; [unrolled: 1-line block ×4, first 2 shown]
	s_mov_b64 s[20:21], -1
	v_lshl_add_u64 v[0:1], v[2:3], 0, 1
	s_and_saveexec_b64 s[18:19], vcc
	s_cbranch_execz .LBB12_64
; %bb.53:                               ;   in Loop: Header=BB12_49 Depth=1
	v_accvgpr_read_b32 v2, a15
	v_and_b32_e32 v30, 8, v2
	v_accvgpr_read_b32 v2, a34
	s_waitcnt lgkmcnt(0)
	v_accvgpr_read_b32 v6, a24
	v_accvgpr_read_b32 v3, a35
	;; [unrolled: 1-line block ×4, first 2 shown]
	v_lshl_add_u64 v[4:5], v[2:3], 0, v[30:31]
	v_lshl_add_u64 v[2:3], v[8:9], 0, 1
	v_cmp_lt_u64_e32 vcc, v[4:5], v[2:3]
	v_mov_b32_e32 v4, 1
	v_accvgpr_read_b32 v7, a25
	s_and_saveexec_b64 s[20:21], vcc
	s_cbranch_execz .LBB12_63
; %bb.54:                               ;   in Loop: Header=BB12_49 Depth=1
	s_mov_b64 s[22:23], 0
	v_mov_b32_e32 v4, 0
                                        ; implicit-def: $sgpr52_sgpr53
	s_branch .LBB12_58
.LBB12_55:                              ;   in Loop: Header=BB12_58 Depth=2
	s_or_b64 exec, exec, s[60:61]
	v_mov_b32_e32 v5, 0
	s_orn2_b64 s[58:59], s[58:59], exec
.LBB12_56:                              ;   in Loop: Header=BB12_58 Depth=2
	s_or_b64 exec, exec, s[56:57]
	s_andn2_b64 vcc, s[52:53], exec
	s_and_b64 s[52:53], s[58:59], exec
	s_or_b64 s[52:53], vcc, s[52:53]
	v_mov_b32_e32 v4, v5
.LBB12_57:                              ;   in Loop: Header=BB12_58 Depth=2
	s_or_b64 exec, exec, s[54:55]
	s_waitcnt vmcnt(0) lgkmcnt(0)
	v_accvgpr_read_b32 v6, a34
	v_accvgpr_read_b32 v7, a35
	v_lshl_add_u64 v[6:7], v[6:7], 0, v[30:31]
	v_cmp_ge_u64_e32 vcc, v[6:7], v[2:3]
	s_xor_b64 s[54:55], s[52:53], -1
	s_or_b64 vcc, s[54:55], vcc
	s_and_b64 vcc, exec, vcc
	s_or_b64 s[22:23], vcc, s[22:23]
	s_andn2_b64 exec, exec, s[22:23]
	s_cbranch_execz .LBB12_62
.LBB12_58:                              ;   Parent Loop BB12_49 Depth=1
                                        ; =>  This Inner Loop Header: Depth=2
	v_accvgpr_read_b32 v6, a28
	v_accvgpr_read_b32 v7, a29
	s_sleep 1
	flat_load_dwordx2 a[34:35], v[6:7] sc0 sc1
	v_accvgpr_read_b32 v5, a15
	v_and_b32_e32 v5, 64, v5
	v_cmp_eq_u32_e32 vcc, 0, v5
	s_andn2_b64 s[52:53], s[52:53], exec
	s_and_saveexec_b64 s[54:55], vcc
	s_cbranch_execz .LBB12_57
; %bb.59:                               ;   in Loop: Header=BB12_58 Depth=2
	v_add_u32_e32 v5, 1, v4
	v_cmp_lt_i32_e32 vcc, s70, v4
	s_mov_b64 s[58:59], -1
	s_and_saveexec_b64 s[56:57], vcc
	s_cbranch_execz .LBB12_56
; %bb.60:                               ;   in Loop: Header=BB12_58 Depth=2
	s_trap 2
	ds_read_b64 v[4:5], v0
	s_waitcnt vmcnt(0) lgkmcnt(0)
	flat_load_dword v4, v[4:5] sc0 sc1
	s_waitcnt vmcnt(0) lgkmcnt(0)
	buffer_inv sc0 sc1
	v_cmp_ne_u32_e32 vcc, 0, v4
	s_and_saveexec_b64 s[60:61], vcc
	s_cbranch_execz .LBB12_55
; %bb.61:                               ;   in Loop: Header=BB12_58 Depth=2
	v_accvgpr_read_b32 v5, a15
	v_or_b32_e32 v5, 64, v5
	v_accvgpr_write_b32 a15, v5
	s_xor_b64 s[58:59], exec, -1
	ds_write_b32 v0, v4
	s_trap 2
	s_branch .LBB12_55
.LBB12_62:                              ;   in Loop: Header=BB12_49 Depth=1
	s_or_b64 exec, exec, s[22:23]
	v_accvgpr_read_b32 v2, a15
	v_and_b32_e32 v4, 12, v2
.LBB12_63:                              ;   in Loop: Header=BB12_49 Depth=1
	s_or_b64 exec, exec, s[20:21]
	v_cmp_eq_u32_e32 vcc, 0, v4
	s_orn2_b64 s[20:21], vcc, exec
	;;#ASMSTART
	s_wakeup
	;;#ASMEND
.LBB12_64:                              ;   in Loop: Header=BB12_49 Depth=1
	s_or_b64 exec, exec, s[18:19]
	s_xor_b64 s[18:19], s[20:21], -1
	v_min_u32_e32 v47, v47, v44
	s_and_saveexec_b64 s[20:21], s[18:19]
	s_cbranch_execz .LBB12_76
; %bb.65:                               ;   in Loop: Header=BB12_49 Depth=1
	v_accvgpr_read_b32 v2, a15
	v_and_b32_e32 v2, 0x108, v2
	v_cmp_ne_u32_e32 vcc, s71, v2
	v_accvgpr_read_b32 v2, a24
	v_accvgpr_read_b32 v4, a26
	v_and_b32_e32 v2, 7, v4
	v_accvgpr_read_b32 v3, a25
	s_and_saveexec_b64 s[18:19], vcc
	s_xor_b64 s[18:19], exec, s[18:19]
	s_andn2_saveexec_b64 s[18:19], s[18:19]
	s_cbranch_execz .LBB12_67
; %bb.66:                               ;   in Loop: Header=BB12_49 Depth=1
	v_accvgpr_read_b32 v4, a24
	v_accvgpr_read_b32 v5, a25
	v_mad_u64_u32 v[4:5], s[22:23], v2, 24, v[4:5]
	v_lshlrev_b32_e32 v6, 1, v47
	v_mov_b32_e32 v7, v31
	flat_store_dwordx2 v[4:5], v[6:7] offset:8
.LBB12_67:                              ;   in Loop: Header=BB12_49 Depth=1
	s_or_b64 exec, exec, s[18:19]
	v_accvgpr_read_b32 v3, a15
	v_and_b32_e32 v3, 0x100, v3
	v_cmp_ne_u32_e32 vcc, 0, v3
	s_mov_b64 s[18:19], -1
                                        ; implicit-def: $vgpr4_vgpr5
	s_and_saveexec_b64 s[22:23], vcc
	s_cbranch_execz .LBB12_71
; %bb.68:                               ;   in Loop: Header=BB12_49 Depth=1
	v_accvgpr_read_b32 v4, a24
	v_accvgpr_read_b32 v5, a25
	v_mad_u64_u32 v[6:7], s[18:19], v2, 24, v[4:5]
	v_mov_b32_e32 v4, v7
	v_mad_u64_u32 v[4:5], s[18:19], v31, 24, v[4:5]
	v_mov_b32_e32 v7, v4
	flat_load_dword v3, v[6:7]
                                        ; implicit-def: $vgpr4_vgpr5
	s_waitcnt vmcnt(0) lgkmcnt(0)
	v_cmp_ne_u32_e32 vcc, 1, v3
	v_cmp_eq_u32_e64 s[18:19], 1, v3
	s_and_saveexec_b64 s[52:53], s[18:19]
	s_cbranch_execz .LBB12_70
; %bb.69:                               ;   in Loop: Header=BB12_49 Depth=1
	flat_load_dword v4, v[6:7] offset:4 sc0 sc1
	s_waitcnt vmcnt(0) lgkmcnt(0)
	v_ashrrev_i32_e32 v5, 31, v4
	v_lshrrev_b64 v[4:5], 1, v[4:5]
.LBB12_70:                              ;   in Loop: Header=BB12_49 Depth=1
	s_or_b64 exec, exec, s[52:53]
	s_orn2_b64 s[18:19], vcc, exec
.LBB12_71:                              ;   in Loop: Header=BB12_49 Depth=1
	s_or_b64 exec, exec, s[22:23]
	s_and_saveexec_b64 s[22:23], s[18:19]
	s_cbranch_execz .LBB12_73
; %bb.72:                               ;   in Loop: Header=BB12_49 Depth=1
	scratch_load_dwordx2 v[4:5], off, s33 offset:256 ; 8-byte Folded Reload
	scratch_load_dwordx2 v[6:7], off, s33 offset:296 ; 8-byte Folded Reload
	s_waitcnt vmcnt(0)
	v_mul_lo_u32 v3, v31, v4
	v_mul_lo_u32 v6, v2, v7
	v_mad_u64_u32 v[4:5], s[18:19], v2, v4, 0
	v_add3_u32 v5, v5, v6, v3
.LBB12_73:                              ;   in Loop: Header=BB12_49 Depth=1
	s_or_b64 exec, exec, s[22:23]
	v_accvgpr_read_b32 v2, a32
	v_accvgpr_read_b32 v3, a33
	v_lshl_add_u64 v[2:3], v[4:5], 1, v[2:3]
	s_trap 2
	ds_write_b64 v0, v[2:3]
	v_accvgpr_read_b32 v2, a15
	v_and_b32_e32 v2, 0x2000, v2
	v_cmp_ne_u32_e32 vcc, 0, v2
	s_and_saveexec_b64 s[18:19], vcc
	s_cbranch_execz .LBB12_75
; %bb.74:                               ;   in Loop: Header=BB12_49 Depth=1
	ds_read_b64 v[2:3], v0 offset:584
	s_waitcnt lgkmcnt(0)
	v_lshl_add_u64 v[2:3], v[2:3], 0, 1
	ds_write_b64 v0, v[2:3] offset:584
.LBB12_75:                              ;   in Loop: Header=BB12_49 Depth=1
	s_or_b64 exec, exec, s[18:19]
	v_accvgpr_write_b32 a27, v1
	v_accvgpr_write_b32 a26, v0
.LBB12_76:                              ;   in Loop: Header=BB12_49 Depth=1
	s_or_b64 exec, exec, s[20:21]
	s_and_saveexec_b64 s[18:19], s[6:7]
	s_cbranch_execz .LBB12_95
; %bb.77:                               ;   in Loop: Header=BB12_49 Depth=1
	s_and_saveexec_b64 s[20:21], s[34:35]
	s_xor_b64 s[20:21], exec, s[20:21]
	s_cbranch_execz .LBB12_92
; %bb.78:                               ;   in Loop: Header=BB12_49 Depth=1
	s_and_saveexec_b64 s[22:23], s[10:11]
	s_cbranch_execz .LBB12_91
; %bb.79:                               ;   in Loop: Header=BB12_49 Depth=1
	s_mov_b64 s[54:55], exec
	v_mbcnt_lo_u32_b32 v0, s54, 0
	v_mbcnt_hi_u32_b32 v0, s55, v0
	v_cmp_eq_u32_e32 vcc, 0, v0
	s_waitcnt lgkmcnt(0)
	s_and_saveexec_b64 s[52:53], vcc
	s_cbranch_execz .LBB12_81
; %bb.80:                               ;   in Loop: Header=BB12_49 Depth=1
	s_bcnt1_i32_b64 vcc_lo, s[54:55]
	v_mov_b32_e32 v30, vcc_lo
	ds_add_u64 v0, v[30:31]
	s_trap 2
.LBB12_81:                              ;   in Loop: Header=BB12_49 Depth=1
	s_or_b64 exec, exec, s[52:53]
	s_trap 2
	ds_read_b64 v[0:1], v0
	v_accvgpr_read_b32 v2, a36
	v_accvgpr_read_b32 v5, a3
	;; [unrolled: 1-line block ×4, first 2 shown]
	v_lshl_add_u64 v[2:3], v[2:3], 0, v[4:5]
	v_accvgpr_write_b32 a37, v3
	v_accvgpr_write_b32 a36, v2
	s_waitcnt lgkmcnt(0)
	v_cmp_lt_u64_e32 vcc, v[0:1], v[2:3]
	s_and_saveexec_b64 s[52:53], vcc
	s_cbranch_execz .LBB12_90
; %bb.82:                               ;   in Loop: Header=BB12_49 Depth=1
	s_mov_b32 s64, 0
	s_mov_b64 s[54:55], 0
                                        ; implicit-def: $sgpr56_sgpr57
                                        ; implicit-def: $sgpr58_sgpr59
	s_branch .LBB12_84
.LBB12_83:                              ;   in Loop: Header=BB12_84 Depth=2
	s_or_b64 exec, exec, s[62:63]
	s_and_b64 vcc, exec, vcc
	s_or_b64 s[54:55], vcc, s[54:55]
	s_andn2_b64 vcc, s[56:57], exec
	s_and_b64 s[56:57], s[58:59], exec
	s_or_b64 s[56:57], vcc, s[56:57]
	s_andn2_b64 exec, exec, s[54:55]
	s_cbranch_execz .LBB12_88
.LBB12_84:                              ;   Parent Loop BB12_49 Depth=1
                                        ; =>  This Inner Loop Header: Depth=2
	s_add_i32 s64, s64, 1
	s_cmpk_lg_i32 s64, 0x2710
	s_cselect_b64 s[60:61], -1, 0
	s_and_b64 vcc, exec, s[60:61]
                                        ; implicit-def: $sgpr62_sgpr63
	s_cbranch_vccnz .LBB12_86
; %bb.85:                               ;   in Loop: Header=BB12_84 Depth=2
	s_trap 2
	ds_read_b64 v[0:1], v0
	s_andn2_b64 s[60:61], s[60:61], exec
	s_mov_b32 s64, 0
	s_mov_b64 s[62:63], -1
	s_waitcnt vmcnt(0) lgkmcnt(0)
	flat_load_dword v0, v[0:1] sc0 sc1
	s_waitcnt vmcnt(0) lgkmcnt(0)
	buffer_inv sc0 sc1
	v_cmp_eq_u32_e32 vcc, 0, v0
	s_and_b64 vcc, vcc, exec
	s_or_b64 s[60:61], s[60:61], vcc
.LBB12_86:                              ;   in Loop: Header=BB12_84 Depth=2
	s_andn2_b64 s[58:59], s[58:59], exec
	s_and_b64 s[62:63], s[62:63], exec
	s_mov_b64 vcc, -1
	s_or_b64 s[58:59], s[58:59], s[62:63]
	s_and_saveexec_b64 s[62:63], s[60:61]
	s_cbranch_execz .LBB12_83
; %bb.87:                               ;   in Loop: Header=BB12_84 Depth=2
	s_sleep 1
	s_trap 2
	ds_read_b64 v[0:1], v0
	v_accvgpr_read_b32 v2, a36
	v_accvgpr_read_b32 v3, a37
	s_andn2_b64 s[58:59], s[58:59], exec
	s_waitcnt lgkmcnt(0)
	v_cmp_ge_u64_e32 vcc, v[0:1], v[2:3]
	s_orn2_b64 vcc, vcc, exec
	s_branch .LBB12_83
.LBB12_88:                              ;   in Loop: Header=BB12_49 Depth=1
	s_or_b64 exec, exec, s[54:55]
	s_and_saveexec_b64 vcc, s[56:57]
	s_xor_b64 vcc, exec, vcc
	s_cbranch_execz .LBB12_90
; %bb.89:                               ;   in Loop: Header=BB12_49 Depth=1
	ds_write_b32 v0, v55
	s_trap 2
.LBB12_90:                              ;   in Loop: Header=BB12_49 Depth=1
	s_or_b64 exec, exec, s[52:53]
	;;#ASMSTART
	s_wakeup
	;;#ASMEND
.LBB12_91:                              ;   in Loop: Header=BB12_49 Depth=1
	s_or_b64 exec, exec, s[22:23]
.LBB12_92:                              ;   in Loop: Header=BB12_49 Depth=1
	s_andn2_saveexec_b64 s[20:21], s[20:21]
	s_cbranch_execz .LBB12_94
; %bb.93:                               ;   in Loop: Header=BB12_49 Depth=1
	s_waitcnt lgkmcnt(0)
	s_barrier
.LBB12_94:                              ;   in Loop: Header=BB12_49 Depth=1
	s_or_b64 exec, exec, s[20:21]
.LBB12_95:                              ;   in Loop: Header=BB12_49 Depth=1
	s_or_b64 exec, exec, s[18:19]
	s_trap 2
	ds_read_b32 v0, v0
	v_accvgpr_read_b32 v1, a15
	v_and_b32_e32 v1, 0x4000, v1
	v_cmp_ne_u32_e32 vcc, 0, v1
	s_and_b64 s[20:21], s[46:47], vcc
	s_and_saveexec_b64 s[18:19], s[20:21]
	s_cbranch_execz .LBB12_114
; %bb.96:                               ;   in Loop: Header=BB12_49 Depth=1
	s_and_saveexec_b64 s[20:21], s[34:35]
	s_xor_b64 s[20:21], exec, s[20:21]
	s_cbranch_execz .LBB12_111
; %bb.97:                               ;   in Loop: Header=BB12_49 Depth=1
	s_and_saveexec_b64 s[22:23], s[10:11]
	s_cbranch_execz .LBB12_110
; %bb.98:                               ;   in Loop: Header=BB12_49 Depth=1
	s_mov_b64 s[54:55], exec
	v_mbcnt_lo_u32_b32 v1, s54, 0
	v_mbcnt_hi_u32_b32 v1, s55, v1
	v_cmp_eq_u32_e32 vcc, 0, v1
	s_waitcnt lgkmcnt(0)
	s_and_saveexec_b64 s[52:53], vcc
	s_cbranch_execz .LBB12_100
; %bb.99:                               ;   in Loop: Header=BB12_49 Depth=1
	s_bcnt1_i32_b64 vcc_lo, s[54:55]
	v_mov_b32_e32 v30, vcc_lo
	ds_add_u64 v0, v[30:31]
	s_trap 2
.LBB12_100:                             ;   in Loop: Header=BB12_49 Depth=1
	s_or_b64 exec, exec, s[52:53]
	s_trap 2
	ds_read_b64 v[2:3], v0
	v_accvgpr_read_b32 v4, a36
	v_accvgpr_read_b32 v7, a3
	;; [unrolled: 1-line block ×4, first 2 shown]
	v_lshl_add_u64 v[4:5], v[4:5], 0, v[6:7]
	v_accvgpr_write_b32 a37, v5
	v_accvgpr_write_b32 a36, v4
	s_waitcnt lgkmcnt(0)
	v_cmp_lt_u64_e32 vcc, v[2:3], v[4:5]
	s_and_saveexec_b64 s[52:53], vcc
	s_cbranch_execz .LBB12_109
; %bb.101:                              ;   in Loop: Header=BB12_49 Depth=1
	s_mov_b32 s64, 0
	s_mov_b64 s[54:55], 0
                                        ; implicit-def: $sgpr56_sgpr57
                                        ; implicit-def: $sgpr58_sgpr59
	s_branch .LBB12_103
.LBB12_102:                             ;   in Loop: Header=BB12_103 Depth=2
	s_or_b64 exec, exec, s[62:63]
	s_and_b64 vcc, exec, vcc
	s_or_b64 s[54:55], vcc, s[54:55]
	s_andn2_b64 vcc, s[56:57], exec
	s_and_b64 s[56:57], s[58:59], exec
	s_or_b64 s[56:57], vcc, s[56:57]
	s_andn2_b64 exec, exec, s[54:55]
	s_cbranch_execz .LBB12_107
.LBB12_103:                             ;   Parent Loop BB12_49 Depth=1
                                        ; =>  This Inner Loop Header: Depth=2
	s_add_i32 s64, s64, 1
	s_cmpk_lg_i32 s64, 0x2710
	s_cselect_b64 s[60:61], -1, 0
	s_and_b64 vcc, exec, s[60:61]
                                        ; implicit-def: $sgpr62_sgpr63
	s_cbranch_vccnz .LBB12_105
; %bb.104:                              ;   in Loop: Header=BB12_103 Depth=2
	s_trap 2
	ds_read_b64 v[2:3], v0
	s_andn2_b64 s[60:61], s[60:61], exec
	s_mov_b32 s64, 0
	s_mov_b64 s[62:63], -1
	s_waitcnt vmcnt(0) lgkmcnt(0)
	flat_load_dword v1, v[2:3] sc0 sc1
	s_waitcnt vmcnt(0) lgkmcnt(0)
	buffer_inv sc0 sc1
	v_cmp_eq_u32_e32 vcc, 0, v1
	s_and_b64 vcc, vcc, exec
	s_or_b64 s[60:61], s[60:61], vcc
.LBB12_105:                             ;   in Loop: Header=BB12_103 Depth=2
	s_andn2_b64 s[58:59], s[58:59], exec
	s_and_b64 s[62:63], s[62:63], exec
	s_mov_b64 vcc, -1
	s_or_b64 s[58:59], s[58:59], s[62:63]
	s_and_saveexec_b64 s[62:63], s[60:61]
	s_cbranch_execz .LBB12_102
; %bb.106:                              ;   in Loop: Header=BB12_103 Depth=2
	s_sleep 1
	s_trap 2
	ds_read_b64 v[2:3], v0
	v_accvgpr_read_b32 v4, a36
	v_accvgpr_read_b32 v5, a37
	s_andn2_b64 s[58:59], s[58:59], exec
	s_waitcnt lgkmcnt(0)
	v_cmp_ge_u64_e32 vcc, v[2:3], v[4:5]
	s_orn2_b64 vcc, vcc, exec
	s_branch .LBB12_102
.LBB12_107:                             ;   in Loop: Header=BB12_49 Depth=1
	s_or_b64 exec, exec, s[54:55]
	s_and_saveexec_b64 vcc, s[56:57]
	s_xor_b64 vcc, exec, vcc
	s_cbranch_execz .LBB12_109
; %bb.108:                              ;   in Loop: Header=BB12_49 Depth=1
	ds_write_b32 v0, v55
	s_trap 2
.LBB12_109:                             ;   in Loop: Header=BB12_49 Depth=1
	s_or_b64 exec, exec, s[52:53]
	;;#ASMSTART
	s_wakeup
	;;#ASMEND
.LBB12_110:                             ;   in Loop: Header=BB12_49 Depth=1
	s_or_b64 exec, exec, s[22:23]
.LBB12_111:                             ;   in Loop: Header=BB12_49 Depth=1
	s_andn2_saveexec_b64 s[20:21], s[20:21]
	s_cbranch_execz .LBB12_113
; %bb.112:                              ;   in Loop: Header=BB12_49 Depth=1
	s_waitcnt lgkmcnt(0)
	s_barrier
.LBB12_113:                             ;   in Loop: Header=BB12_49 Depth=1
	s_or_b64 exec, exec, s[20:21]
.LBB12_114:                             ;   in Loop: Header=BB12_49 Depth=1
	s_or_b64 exec, exec, s[18:19]
	s_trap 2
	s_waitcnt lgkmcnt(0)
	ds_read_b64 v[2:3], v0
	s_waitcnt lgkmcnt(0)
	v_readfirstlane_b32 s18, v2
	v_readfirstlane_b32 s19, v3
	s_cmp_eq_u64 s[18:19], 0
	s_cselect_b64 s[18:19], -1, 0
	s_or_b64 s[20:21], s[18:19], s[18:19]
	s_mov_b64 s[18:19], 0
	s_and_b64 vcc, exec, s[20:21]
	s_cbranch_vccnz .LBB12_860
; %bb.115:                              ;   in Loop: Header=BB12_49 Depth=1
	s_mov_b64 s[18:19], -1
	s_and_saveexec_b64 s[20:21], s[12:13]
	s_cbranch_execz .LBB12_117
; %bb.116:                              ;   in Loop: Header=BB12_49 Depth=1
	ds_read_b32 v1, v0 offset:720
	s_waitcnt lgkmcnt(0)
	v_and_b32_e32 v1, 15, v1
	v_cmp_eq_u32_e32 vcc, 0, v1
	s_orn2_b64 s[18:19], vcc, exec
.LBB12_117:                             ;   in Loop: Header=BB12_49 Depth=1
	s_or_b64 exec, exec, s[20:21]
	s_and_saveexec_b64 s[20:21], s[14:15]
	s_cbranch_execz .LBB12_119
; %bb.118:                              ;   in Loop: Header=BB12_49 Depth=1
	ds_read_b32 v1, v0 offset:784
	s_waitcnt lgkmcnt(0)
	v_and_b32_e32 v1, 15, v1
	v_cmp_eq_u32_e32 vcc, 0, v1
	s_and_b64 s[22:23], s[18:19], vcc
	s_andn2_b64 s[18:19], s[18:19], exec
	s_and_b64 s[22:23], s[22:23], exec
	s_or_b64 s[18:19], s[18:19], s[22:23]
.LBB12_119:                             ;   in Loop: Header=BB12_49 Depth=1
	s_or_b64 exec, exec, s[20:21]
	s_xor_b64 s[18:19], s[18:19], -1
	v_cmp_eq_u32_e32 vcc, 0, v0
	v_cndmask_b32_e64 v0, 0, 1, s[18:19]
	;;#ASMSTART
	;;#ASMEND
	s_trap 2
	ds_read_b64 v[8:9], v0
	v_cndmask_b32_e32 v25, 0, v47, vcc
	v_mov_b32_e32 v3, 0
	v_lshlrev_b32_e32 v45, 1, v25
	s_mov_b64 s[18:19], -1
	v_cmp_ne_u32_e32 vcc, 0, v0
	s_cbranch_vccz .LBB12_121
; %bb.120:                              ;   in Loop: Header=BB12_49 Depth=1
	v_mov_b32_e32 v2, v48
	v_mov_b32_e32 v0, v49
	s_and_saveexec_b64 s[22:23], s[18:19]
	s_cbranch_execnz .LBB12_631
	s_branch .LBB12_859
.LBB12_121:                             ;   in Loop: Header=BB12_49 Depth=1
	scratch_store_dword off, v45, s33 offset:324 ; 4-byte Folded Spill
	scratch_store_dwordx2 off, v[44:45], s33 offset:332 ; 8-byte Folded Spill
	scratch_store_dwordx2 off, v[42:43], s33 offset:340 ; 8-byte Folded Spill
	scratch_store_dword off, v25, s33 offset:316 ; 4-byte Folded Spill
	v_lshrrev_b32_e32 v0, 11, v25
	scratch_store_dword off, v0, s33 offset:328 ; 4-byte Folded Spill
	v_sub_u32_e32 v52, v0, v49
	scratch_load_dwordx2 v[0:1], off, s33 offset:348 ; 8-byte Folded Reload
	v_cmp_lt_i32_e32 vcc, 0, v52
	s_mov_b64 s[20:21], 0
	s_waitcnt lgkmcnt(0)
	scratch_store_dwordx2 off, v[8:9], s33 offset:308 ; 8-byte Folded Spill
                                        ; implicit-def: $vgpr56_vgpr57
                                        ; implicit-def: $agpr58_agpr59
                                        ; implicit-def: $vgpr36_vgpr37
                                        ; implicit-def: $agpr20_agpr21
                                        ; implicit-def: $vgpr26_vgpr27
                                        ; implicit-def: $agpr52_agpr53
                                        ; implicit-def: $vgpr14_vgpr15
                                        ; implicit-def: $agpr4_agpr5
	s_waitcnt vmcnt(0)
	v_lshl_add_u64 v[0:1], v[8:9], 0, v[0:1]
	s_and_saveexec_b64 s[18:19], vcc
	s_cbranch_execz .LBB12_385
; %bb.122:                              ;   in Loop: Header=BB12_49 Depth=1
	scratch_store_dword off, v47, s33 offset:428 ; 4-byte Folded Spill
	s_trap 2
	scratch_load_dwordx2 v[6:7], off, s33 offset:348 ; 8-byte Folded Reload
	ds_read_b128 v[2:5], v0
	s_mov_b64 s[52:53], 0
                                        ; implicit-def: $sgpr22_sgpr23
                                        ; implicit-def: $agpr6_agpr7
                                        ; implicit-def: $vgpr16_vgpr17
                                        ; implicit-def: $agpr54_agpr55
                                        ; implicit-def: $vgpr28_vgpr29
                                        ; implicit-def: $agpr22_agpr23
                                        ; implicit-def: $vgpr38_vgpr39
                                        ; implicit-def: $agpr60_agpr61
                                        ; implicit-def: $vgpr58_vgpr59
	s_waitcnt vmcnt(0) lgkmcnt(0)
	v_lshl_add_u64 v[24:25], v[2:3], 0, v[6:7]
	v_lshl_add_u64 v[22:23], v[4:5], 0, v[6:7]
	s_branch .LBB12_124
.LBB12_123:                             ;   in Loop: Header=BB12_124 Depth=2
	s_or_b64 exec, exec, s[54:55]
	v_lshrrev_b32_e32 v2, 16, v40
	v_and_or_b32 v41, v41, s74, v2
	v_lshrrev_b32_e32 v2, 16, v7
	v_and_or_b32 v40, v35, s74, v2
	;; [unrolled: 2-line block ×9, first 2 shown]
	v_accvgpr_read_b32 v2, a13
	v_lshrrev_b32_e32 v2, 16, v2
	v_and_or_b32 v6, v30, s74, v2
	v_lshrrev_b32_e32 v2, 16, v61
	v_and_or_b32 v8, v12, s74, v2
	;; [unrolled: 2-line block ×7, first 2 shown]
	global_store_dwordx4 v[0:1], v[6:9], off nt
	global_store_dwordx4 v[0:1], v[32:35], off offset:1024 nt
	global_store_dwordx4 v[0:1], v[40:43], off offset:2048 nt
	;; [unrolled: 1-line block ×3, first 2 shown]
	scratch_load_dwordx2 v[4:5], off, s33 offset:264 ; 8-byte Folded Reload
	v_accvgpr_read_b32 v6, a10
	v_accvgpr_read_b32 v7, a11
	v_mov_b32_e32 v8, 0x1000
	v_cndmask_b32_e64 v7, 0, v7, s[52:53]
	v_cndmask_b32_e64 v6, v8, v6, s[52:53]
	v_lshl_add_u64 v[0:1], v[0:1], 0, v[6:7]
	s_waitcnt vmcnt(0)
	v_lshl_add_u64 v[2:3], v[24:25], 0, v[4:5]
	v_cndmask_b32_e64 v25, v25, v3, s[52:53]
	v_cndmask_b32_e64 v24, v24, v2, s[52:53]
	v_accvgpr_read_b32 v2, a2
	v_accvgpr_read_b32 v3, a3
	v_cndmask_b32_e64 v2, 0, v2, s[52:53]
	v_accvgpr_read_b32 v3, a12
	v_sub_u32_e32 v52, v3, v2
	v_cmp_gt_i32_e32 vcc, 1, v52
	s_or_b64 s[20:21], vcc, s[20:21]
	v_lshl_add_u64 v[4:5], v[22:23], 0, v[4:5]
	s_andn2_b64 s[22:23], s[22:23], exec
	s_and_b64 vcc, s[52:53], exec
	v_cndmask_b32_e64 v23, v23, v5, s[52:53]
	v_cndmask_b32_e64 v22, v22, v4, s[52:53]
	s_or_b64 s[22:23], s[22:23], vcc
	s_andn2_b64 exec, exec, s[20:21]
	s_cbranch_execz .LBB12_384
.LBB12_124:                             ;   Parent Loop BB12_49 Depth=1
                                        ; =>  This Inner Loop Header: Depth=2
	v_accvgpr_write_b32 a47, v52
	global_load_dwordx4 v[18:21], v[24:25], off nt
	global_load_dwordx4 v[6:9], v[24:25], off offset:1024 nt
	global_load_dwordx4 v[44:47], v[24:25], off offset:2048 nt
	;; [unrolled: 1-line block ×3, first 2 shown]
	global_load_dwordx4 v[10:13], v[22:23], off nt
	global_load_dwordx4 v[2:5], v[22:23], off offset:1024 nt
	global_load_dwordx4 v[40:43], v[22:23], off offset:2048 nt
	;; [unrolled: 1-line block ×3, first 2 shown]
	s_and_saveexec_b64 s[54:55], s[52:53]
	s_cbranch_execz .LBB12_254
; %bb.125:                              ;   in Loop: Header=BB12_124 Depth=2
	v_accvgpr_read_b32 v32, a58
	v_lshlrev_b32_e32 v30, 16, v56
	v_accvgpr_read_b32 v33, a59
	v_lshlrev_b32_e32 v32, 16, v32
	v_pk_mul_f32 v[60:61], v[30:31], v[32:33] op_sel_hi:[0,1]
	v_and_b32_e32 v30, 0x7f800000, v60
	v_cmp_ne_u32_e32 vcc, s72, v30
	v_accvgpr_read_b32 v34, a60
	v_accvgpr_read_b32 v35, a61
                                        ; implicit-def: $agpr12
	s_and_saveexec_b64 s[52:53], vcc
	s_xor_b64 vcc, exec, s[52:53]
; %bb.126:                              ;   in Loop: Header=BB12_124 Depth=2
	v_bfe_u32 v30, v60, 16, 1
	v_add3_u32 v30, v60, v30, s73
	v_accvgpr_write_b32 a12, v30
                                        ; implicit-def: $vgpr60_vgpr61
; %bb.127:                              ;   in Loop: Header=BB12_124 Depth=2
	s_andn2_saveexec_b64 s[52:53], vcc
; %bb.128:                              ;   in Loop: Header=BB12_124 Depth=2
	v_or_b32_e32 v30, 0x10000, v60
	v_cmp_eq_u32_sdwa vcc, v60, v31 src0_sel:WORD_0 src1_sel:DWORD
	s_nop 1
	v_cndmask_b32_e32 v30, v30, v60, vcc
	v_accvgpr_write_b32 a12, v30
; %bb.129:                              ;   in Loop: Header=BB12_124 Depth=2
	s_or_b64 exec, exec, s[52:53]
	v_accvgpr_read_b32 v32, a58
	v_accvgpr_read_b32 v33, a59
	v_mov_b32_e32 v30, v32
	v_mov_b32_e32 v33, v56
	v_and_b32_e32 v32, 0xffff0000, v33
	v_and_b32_e32 v30, 0xffff0000, v30
	v_pk_mul_f32 v[60:61], v[32:33], v[30:31] op_sel_hi:[0,1]
	v_and_b32_e32 v30, 0x7f800000, v60
	v_cmp_ne_u32_e32 vcc, s72, v30
	v_accvgpr_read_b32 v34, a60
	v_accvgpr_read_b32 v35, a61
                                        ; implicit-def: $agpr13
	s_and_saveexec_b64 s[52:53], vcc
	s_xor_b64 vcc, exec, s[52:53]
; %bb.130:                              ;   in Loop: Header=BB12_124 Depth=2
	v_bfe_u32 v30, v60, 16, 1
	v_add3_u32 v30, v60, v30, s73
	v_accvgpr_write_b32 a13, v30
                                        ; implicit-def: $vgpr60_vgpr61
; %bb.131:                              ;   in Loop: Header=BB12_124 Depth=2
	s_andn2_saveexec_b64 s[52:53], vcc
; %bb.132:                              ;   in Loop: Header=BB12_124 Depth=2
	v_or_b32_e32 v30, 0x10000, v60
	v_cmp_eq_u32_sdwa vcc, v60, v31 src0_sel:WORD_0 src1_sel:DWORD
	s_nop 1
	v_cndmask_b32_e32 v30, v30, v60, vcc
	v_accvgpr_write_b32 a13, v30
; %bb.133:                              ;   in Loop: Header=BB12_124 Depth=2
	s_or_b64 exec, exec, s[52:53]
	v_accvgpr_read_b32 v32, a58
	v_accvgpr_read_b32 v33, a59
	v_lshlrev_b32_e32 v30, 16, v57
	v_lshlrev_b32_e32 v32, 16, v33
	v_pk_mul_f32 v[60:61], v[30:31], v[32:33] op_sel_hi:[0,1]
	v_and_b32_e32 v30, 0x7f800000, v60
	v_cmp_ne_u32_e32 vcc, s72, v30
	v_accvgpr_read_b32 v34, a60
	v_accvgpr_read_b32 v35, a61
                                        ; implicit-def: $agpr18
	s_and_saveexec_b64 s[52:53], vcc
	s_xor_b64 vcc, exec, s[52:53]
; %bb.134:                              ;   in Loop: Header=BB12_124 Depth=2
	v_bfe_u32 v30, v60, 16, 1
	v_add3_u32 v30, v60, v30, s73
	v_accvgpr_write_b32 a18, v30
                                        ; implicit-def: $vgpr60_vgpr61
; %bb.135:                              ;   in Loop: Header=BB12_124 Depth=2
	s_andn2_saveexec_b64 s[52:53], vcc
; %bb.136:                              ;   in Loop: Header=BB12_124 Depth=2
	v_or_b32_e32 v30, 0x10000, v60
	v_cmp_eq_u32_sdwa vcc, v60, v31 src0_sel:WORD_0 src1_sel:DWORD
	s_nop 1
	v_cndmask_b32_e32 v30, v30, v60, vcc
	v_accvgpr_write_b32 a18, v30
; %bb.137:                              ;   in Loop: Header=BB12_124 Depth=2
	s_or_b64 exec, exec, s[52:53]
	v_accvgpr_read_b32 v32, a58
	v_accvgpr_read_b32 v33, a59
	v_mov_b32_e32 v30, v33
	v_and_b32_e32 v32, 0xffff0000, v57
	v_and_b32_e32 v30, 0xffff0000, v30
	v_pk_mul_f32 v[56:57], v[32:33], v[30:31] op_sel_hi:[0,1]
	v_and_b32_e32 v30, 0x7f800000, v56
	v_cmp_ne_u32_e32 vcc, s72, v30
	v_accvgpr_read_b32 v34, a60
	v_accvgpr_read_b32 v35, a61
                                        ; implicit-def: $agpr19
	s_and_saveexec_b64 s[52:53], vcc
	s_xor_b64 vcc, exec, s[52:53]
; %bb.138:                              ;   in Loop: Header=BB12_124 Depth=2
	v_bfe_u32 v30, v56, 16, 1
	v_add3_u32 v30, v56, v30, s73
	v_accvgpr_write_b32 a19, v30
                                        ; implicit-def: $vgpr56_vgpr57
; %bb.139:                              ;   in Loop: Header=BB12_124 Depth=2
	s_andn2_saveexec_b64 s[52:53], vcc
; %bb.140:                              ;   in Loop: Header=BB12_124 Depth=2
	v_or_b32_e32 v30, 0x10000, v56
	v_cmp_eq_u32_sdwa vcc, v56, v31 src0_sel:WORD_0 src1_sel:DWORD
	s_nop 1
	v_cndmask_b32_e32 v30, v30, v56, vcc
	v_accvgpr_write_b32 a19, v30
; %bb.141:                              ;   in Loop: Header=BB12_124 Depth=2
	s_or_b64 exec, exec, s[52:53]
	v_accvgpr_read_b32 v32, a58
	v_accvgpr_read_b32 v34, a60
	v_lshlrev_b32_e32 v30, 16, v58
	v_accvgpr_read_b32 v33, a59
	v_lshlrev_b32_e32 v32, 16, v34
	v_pk_mul_f32 v[56:57], v[30:31], v[32:33] op_sel_hi:[0,1]
	v_and_b32_e32 v30, 0x7f800000, v56
	v_cmp_ne_u32_e32 vcc, s72, v30
	v_accvgpr_read_b32 v35, a61
                                        ; implicit-def: $agpr30
	s_and_saveexec_b64 s[52:53], vcc
	s_xor_b64 vcc, exec, s[52:53]
; %bb.142:                              ;   in Loop: Header=BB12_124 Depth=2
	v_bfe_u32 v30, v56, 16, 1
	v_add3_u32 v30, v56, v30, s73
	v_accvgpr_write_b32 a30, v30
                                        ; implicit-def: $vgpr56_vgpr57
; %bb.143:                              ;   in Loop: Header=BB12_124 Depth=2
	s_andn2_saveexec_b64 s[52:53], vcc
; %bb.144:                              ;   in Loop: Header=BB12_124 Depth=2
	v_or_b32_e32 v30, 0x10000, v56
	v_cmp_eq_u32_sdwa vcc, v56, v31 src0_sel:WORD_0 src1_sel:DWORD
	s_nop 1
	v_cndmask_b32_e32 v30, v30, v56, vcc
	v_accvgpr_write_b32 a30, v30
; %bb.145:                              ;   in Loop: Header=BB12_124 Depth=2
	s_or_b64 exec, exec, s[52:53]
	v_accvgpr_read_b32 v32, a58
	v_accvgpr_read_b32 v33, a59
	;; [unrolled: 1-line block ×3, first 2 shown]
	v_mov_b32_e32 v30, v34
	v_mov_b32_e32 v33, v58
	v_and_b32_e32 v32, 0xffff0000, v33
	v_and_b32_e32 v30, 0xffff0000, v30
	v_pk_mul_f32 v[56:57], v[32:33], v[30:31] op_sel_hi:[0,1]
	v_and_b32_e32 v30, 0x7f800000, v56
	v_cmp_ne_u32_e32 vcc, s72, v30
	v_accvgpr_read_b32 v35, a61
                                        ; implicit-def: $agpr14
	s_and_saveexec_b64 s[52:53], vcc
	s_xor_b64 vcc, exec, s[52:53]
; %bb.146:                              ;   in Loop: Header=BB12_124 Depth=2
	v_bfe_u32 v30, v56, 16, 1
	v_add3_u32 v30, v56, v30, s73
	v_accvgpr_write_b32 a14, v30
                                        ; implicit-def: $vgpr56_vgpr57
; %bb.147:                              ;   in Loop: Header=BB12_124 Depth=2
	s_andn2_saveexec_b64 s[52:53], vcc
; %bb.148:                              ;   in Loop: Header=BB12_124 Depth=2
	v_or_b32_e32 v30, 0x10000, v56
	v_cmp_eq_u32_sdwa vcc, v56, v31 src0_sel:WORD_0 src1_sel:DWORD
	s_nop 1
	v_cndmask_b32_e32 v30, v30, v56, vcc
	v_accvgpr_write_b32 a14, v30
; %bb.149:                              ;   in Loop: Header=BB12_124 Depth=2
	s_or_b64 exec, exec, s[52:53]
	v_accvgpr_read_b32 v32, a58
	v_accvgpr_read_b32 v35, a61
	v_lshlrev_b32_e32 v30, 16, v59
	v_accvgpr_read_b32 v33, a59
	v_lshlrev_b32_e32 v32, 16, v35
	v_pk_mul_f32 v[56:57], v[30:31], v[32:33] op_sel_hi:[0,1]
	v_and_b32_e32 v30, 0x7f800000, v56
	v_cmp_ne_u32_e32 vcc, s72, v30
	v_accvgpr_read_b32 v34, a60
                                        ; implicit-def: $agpr0
	s_and_saveexec_b64 s[52:53], vcc
	s_xor_b64 vcc, exec, s[52:53]
; %bb.150:                              ;   in Loop: Header=BB12_124 Depth=2
	v_bfe_u32 v30, v56, 16, 1
	v_add3_u32 v30, v56, v30, s73
	v_accvgpr_write_b32 a0, v30
                                        ; implicit-def: $vgpr56_vgpr57
; %bb.151:                              ;   in Loop: Header=BB12_124 Depth=2
	s_andn2_saveexec_b64 s[52:53], vcc
; %bb.152:                              ;   in Loop: Header=BB12_124 Depth=2
	v_or_b32_e32 v30, 0x10000, v56
	v_cmp_eq_u32_sdwa vcc, v56, v31 src0_sel:WORD_0 src1_sel:DWORD
	s_nop 1
	v_cndmask_b32_e32 v30, v30, v56, vcc
	v_accvgpr_write_b32 a0, v30
; %bb.153:                              ;   in Loop: Header=BB12_124 Depth=2
	s_or_b64 exec, exec, s[52:53]
	v_accvgpr_read_b32 v32, a58
	v_accvgpr_read_b32 v35, a61
	v_mov_b32_e32 v30, v35
	v_accvgpr_read_b32 v33, a59
	v_and_b32_e32 v32, 0xffff0000, v59
	v_and_b32_e32 v30, 0xffff0000, v30
	v_pk_mul_f32 v[56:57], v[32:33], v[30:31] op_sel_hi:[0,1]
	v_and_b32_e32 v30, 0x7f800000, v56
	v_cmp_ne_u32_e32 vcc, s72, v30
	v_accvgpr_read_b32 v34, a60
                                        ; implicit-def: $agpr31
	s_and_saveexec_b64 s[52:53], vcc
	s_xor_b64 vcc, exec, s[52:53]
; %bb.154:                              ;   in Loop: Header=BB12_124 Depth=2
	v_bfe_u32 v30, v56, 16, 1
	v_add3_u32 v30, v56, v30, s73
	v_accvgpr_write_b32 a31, v30
                                        ; implicit-def: $vgpr56_vgpr57
; %bb.155:                              ;   in Loop: Header=BB12_124 Depth=2
	s_andn2_saveexec_b64 s[52:53], vcc
; %bb.156:                              ;   in Loop: Header=BB12_124 Depth=2
	v_or_b32_e32 v30, 0x10000, v56
	v_cmp_eq_u32_sdwa vcc, v56, v31 src0_sel:WORD_0 src1_sel:DWORD
	s_nop 1
	v_cndmask_b32_e32 v30, v30, v56, vcc
	v_accvgpr_write_b32 a31, v30
; %bb.157:                              ;   in Loop: Header=BB12_124 Depth=2
	s_or_b64 exec, exec, s[52:53]
	v_accvgpr_read_b32 v35, a23
	v_accvgpr_read_b32 v32, a20
	v_lshlrev_b32_e32 v30, 16, v36
	v_accvgpr_read_b32 v33, a21
	v_lshlrev_b32_e32 v32, 16, v32
	v_pk_mul_f32 v[56:57], v[30:31], v[32:33] op_sel_hi:[0,1]
	v_and_b32_e32 v30, 0x7f800000, v56
	v_cmp_ne_u32_e32 vcc, s72, v30
	v_accvgpr_read_b32 v34, a22
                                        ; implicit-def: $agpr1
	s_and_saveexec_b64 s[52:53], vcc
	s_xor_b64 vcc, exec, s[52:53]
; %bb.158:                              ;   in Loop: Header=BB12_124 Depth=2
	v_bfe_u32 v30, v56, 16, 1
	v_add3_u32 v30, v56, v30, s73
	v_accvgpr_write_b32 a1, v30
                                        ; implicit-def: $vgpr56_vgpr57
; %bb.159:                              ;   in Loop: Header=BB12_124 Depth=2
	s_andn2_saveexec_b64 s[52:53], vcc
; %bb.160:                              ;   in Loop: Header=BB12_124 Depth=2
	v_or_b32_e32 v30, 0x10000, v56
	v_cmp_eq_u32_sdwa vcc, v56, v31 src0_sel:WORD_0 src1_sel:DWORD
	s_nop 1
	v_cndmask_b32_e32 v30, v30, v56, vcc
	v_accvgpr_write_b32 a1, v30
; %bb.161:                              ;   in Loop: Header=BB12_124 Depth=2
	s_or_b64 exec, exec, s[52:53]
	v_accvgpr_read_b32 v35, a23
	v_accvgpr_read_b32 v33, a21
	;; [unrolled: 1-line block ×3, first 2 shown]
	v_mov_b32_e32 v30, v32
	v_mov_b32_e32 v33, v36
	v_and_b32_e32 v32, 0xffff0000, v33
	v_and_b32_e32 v30, 0xffff0000, v30
	v_pk_mul_f32 v[56:57], v[32:33], v[30:31] op_sel_hi:[0,1]
	v_and_b32_e32 v30, 0x7f800000, v56
	v_cmp_ne_u32_e32 vcc, s72, v30
	v_accvgpr_read_b32 v34, a22
                                        ; implicit-def: $agpr46
	s_and_saveexec_b64 s[52:53], vcc
	s_xor_b64 vcc, exec, s[52:53]
; %bb.162:                              ;   in Loop: Header=BB12_124 Depth=2
	v_bfe_u32 v30, v56, 16, 1
	v_add3_u32 v30, v56, v30, s73
	v_accvgpr_write_b32 a46, v30
                                        ; implicit-def: $vgpr56_vgpr57
; %bb.163:                              ;   in Loop: Header=BB12_124 Depth=2
	s_andn2_saveexec_b64 s[52:53], vcc
; %bb.164:                              ;   in Loop: Header=BB12_124 Depth=2
	v_or_b32_e32 v30, 0x10000, v56
	v_cmp_eq_u32_sdwa vcc, v56, v31 src0_sel:WORD_0 src1_sel:DWORD
	s_nop 1
	v_cndmask_b32_e32 v30, v30, v56, vcc
	v_accvgpr_write_b32 a46, v30
; %bb.165:                              ;   in Loop: Header=BB12_124 Depth=2
	s_or_b64 exec, exec, s[52:53]
	v_accvgpr_read_b32 v35, a23
	v_accvgpr_read_b32 v33, a21
	;; [unrolled: 1-line block ×3, first 2 shown]
	v_lshlrev_b32_e32 v30, 16, v37
	v_lshlrev_b32_e32 v32, 16, v33
	v_pk_mul_f32 v[56:57], v[30:31], v[32:33] op_sel_hi:[0,1]
	v_and_b32_e32 v30, 0x7f800000, v56
	v_cmp_ne_u32_e32 vcc, s72, v30
	v_accvgpr_read_b32 v34, a22
                                        ; implicit-def: $agpr56
	s_and_saveexec_b64 s[52:53], vcc
	s_xor_b64 vcc, exec, s[52:53]
; %bb.166:                              ;   in Loop: Header=BB12_124 Depth=2
	v_bfe_u32 v30, v56, 16, 1
	v_add3_u32 v30, v56, v30, s73
	v_accvgpr_write_b32 a56, v30
                                        ; implicit-def: $vgpr56_vgpr57
; %bb.167:                              ;   in Loop: Header=BB12_124 Depth=2
	s_andn2_saveexec_b64 s[52:53], vcc
; %bb.168:                              ;   in Loop: Header=BB12_124 Depth=2
	v_or_b32_e32 v30, 0x10000, v56
	v_cmp_eq_u32_sdwa vcc, v56, v31 src0_sel:WORD_0 src1_sel:DWORD
	s_nop 1
	v_cndmask_b32_e32 v30, v30, v56, vcc
	v_accvgpr_write_b32 a56, v30
; %bb.169:                              ;   in Loop: Header=BB12_124 Depth=2
	s_or_b64 exec, exec, s[52:53]
	v_accvgpr_read_b32 v35, a23
	v_accvgpr_read_b32 v33, a21
	;; [unrolled: 1-line block ×3, first 2 shown]
	v_mov_b32_e32 v30, v33
	v_and_b32_e32 v32, 0xffff0000, v37
	v_and_b32_e32 v30, 0xffff0000, v30
	v_pk_mul_f32 v[36:37], v[32:33], v[30:31] op_sel_hi:[0,1]
	v_and_b32_e32 v30, 0x7f800000, v36
	v_cmp_ne_u32_e32 vcc, s72, v30
	v_accvgpr_read_b32 v34, a22
                                        ; implicit-def: $agpr57
	s_and_saveexec_b64 s[52:53], vcc
	s_xor_b64 vcc, exec, s[52:53]
; %bb.170:                              ;   in Loop: Header=BB12_124 Depth=2
	v_bfe_u32 v30, v36, 16, 1
	v_add3_u32 v30, v36, v30, s73
	v_accvgpr_write_b32 a57, v30
                                        ; implicit-def: $vgpr36_vgpr37
; %bb.171:                              ;   in Loop: Header=BB12_124 Depth=2
	s_andn2_saveexec_b64 s[52:53], vcc
; %bb.172:                              ;   in Loop: Header=BB12_124 Depth=2
	v_or_b32_e32 v30, 0x10000, v36
	v_cmp_eq_u32_sdwa vcc, v36, v31 src0_sel:WORD_0 src1_sel:DWORD
	s_nop 1
	v_cndmask_b32_e32 v30, v30, v36, vcc
	v_accvgpr_write_b32 a57, v30
; %bb.173:                              ;   in Loop: Header=BB12_124 Depth=2
	s_or_b64 exec, exec, s[52:53]
	v_accvgpr_read_b32 v35, a23
	v_accvgpr_read_b32 v34, a22
	;; [unrolled: 1-line block ×3, first 2 shown]
	v_lshlrev_b32_e32 v30, 16, v38
	v_accvgpr_read_b32 v33, a21
	v_lshlrev_b32_e32 v32, 16, v34
	v_pk_mul_f32 v[36:37], v[30:31], v[32:33] op_sel_hi:[0,1]
	v_and_b32_e32 v30, 0x7f800000, v36
	v_cmp_ne_u32_e32 vcc, s72, v30
                                        ; implicit-def: $agpr62
	s_and_saveexec_b64 s[52:53], vcc
	s_xor_b64 vcc, exec, s[52:53]
; %bb.174:                              ;   in Loop: Header=BB12_124 Depth=2
	v_bfe_u32 v30, v36, 16, 1
	v_add3_u32 v30, v36, v30, s73
	v_accvgpr_write_b32 a62, v30
                                        ; implicit-def: $vgpr36_vgpr37
; %bb.175:                              ;   in Loop: Header=BB12_124 Depth=2
	s_andn2_saveexec_b64 s[52:53], vcc
; %bb.176:                              ;   in Loop: Header=BB12_124 Depth=2
	v_or_b32_e32 v30, 0x10000, v36
	v_cmp_eq_u32_sdwa vcc, v36, v31 src0_sel:WORD_0 src1_sel:DWORD
	s_nop 1
	v_cndmask_b32_e32 v30, v30, v36, vcc
	v_accvgpr_write_b32 a62, v30
; %bb.177:                              ;   in Loop: Header=BB12_124 Depth=2
	s_or_b64 exec, exec, s[52:53]
	v_accvgpr_read_b32 v35, a23
	v_accvgpr_read_b32 v34, a22
	;; [unrolled: 1-line block ×4, first 2 shown]
	v_mov_b32_e32 v30, v34
	v_mov_b32_e32 v33, v38
	v_and_b32_e32 v32, 0xffff0000, v33
	v_and_b32_e32 v30, 0xffff0000, v30
	v_pk_mul_f32 v[36:37], v[32:33], v[30:31] op_sel_hi:[0,1]
	v_and_b32_e32 v30, 0x7f800000, v36
	v_cmp_ne_u32_e32 vcc, s72, v30
                                        ; implicit-def: $agpr63
	s_and_saveexec_b64 s[52:53], vcc
	s_xor_b64 vcc, exec, s[52:53]
; %bb.178:                              ;   in Loop: Header=BB12_124 Depth=2
	v_bfe_u32 v30, v36, 16, 1
	v_add3_u32 v30, v36, v30, s73
	v_accvgpr_write_b32 a63, v30
                                        ; implicit-def: $vgpr36_vgpr37
; %bb.179:                              ;   in Loop: Header=BB12_124 Depth=2
	s_andn2_saveexec_b64 s[52:53], vcc
; %bb.180:                              ;   in Loop: Header=BB12_124 Depth=2
	v_or_b32_e32 v30, 0x10000, v36
	v_cmp_eq_u32_sdwa vcc, v36, v31 src0_sel:WORD_0 src1_sel:DWORD
	s_nop 1
	v_cndmask_b32_e32 v30, v30, v36, vcc
	v_accvgpr_write_b32 a63, v30
; %bb.181:                              ;   in Loop: Header=BB12_124 Depth=2
	s_or_b64 exec, exec, s[52:53]
	v_accvgpr_read_b32 v35, a23
	v_accvgpr_read_b32 v32, a20
	v_lshlrev_b32_e32 v30, 16, v39
	v_accvgpr_read_b32 v33, a21
	v_lshlrev_b32_e32 v32, 16, v35
	v_pk_mul_f32 v[36:37], v[30:31], v[32:33] op_sel_hi:[0,1]
	v_and_b32_e32 v30, 0x7f800000, v36
	v_cmp_ne_u32_e32 vcc, s72, v30
	v_accvgpr_read_b32 v34, a22
                                        ; implicit-def: $agpr8
	s_and_saveexec_b64 s[52:53], vcc
	s_xor_b64 vcc, exec, s[52:53]
; %bb.182:                              ;   in Loop: Header=BB12_124 Depth=2
	v_bfe_u32 v30, v36, 16, 1
	v_add3_u32 v30, v36, v30, s73
	v_accvgpr_write_b32 a8, v30
                                        ; implicit-def: $vgpr36_vgpr37
; %bb.183:                              ;   in Loop: Header=BB12_124 Depth=2
	s_andn2_saveexec_b64 s[52:53], vcc
; %bb.184:                              ;   in Loop: Header=BB12_124 Depth=2
	v_or_b32_e32 v30, 0x10000, v36
	v_cmp_eq_u32_sdwa vcc, v36, v31 src0_sel:WORD_0 src1_sel:DWORD
	s_nop 1
	v_cndmask_b32_e32 v30, v30, v36, vcc
	v_accvgpr_write_b32 a8, v30
; %bb.185:                              ;   in Loop: Header=BB12_124 Depth=2
	s_or_b64 exec, exec, s[52:53]
	v_accvgpr_read_b32 v35, a23
	v_accvgpr_read_b32 v32, a20
	v_mov_b32_e32 v30, v35
	v_accvgpr_read_b32 v33, a21
	v_and_b32_e32 v32, 0xffff0000, v39
	v_and_b32_e32 v30, 0xffff0000, v30
	v_pk_mul_f32 v[36:37], v[32:33], v[30:31] op_sel_hi:[0,1]
	v_and_b32_e32 v30, 0x7f800000, v36
	v_cmp_ne_u32_e32 vcc, s72, v30
	v_accvgpr_read_b32 v34, a22
                                        ; implicit-def: $agpr9
	s_and_saveexec_b64 s[52:53], vcc
	s_xor_b64 vcc, exec, s[52:53]
; %bb.186:                              ;   in Loop: Header=BB12_124 Depth=2
	v_bfe_u32 v30, v36, 16, 1
	v_add3_u32 v30, v36, v30, s73
	v_accvgpr_write_b32 a9, v30
                                        ; implicit-def: $vgpr36_vgpr37
; %bb.187:                              ;   in Loop: Header=BB12_124 Depth=2
	s_andn2_saveexec_b64 s[52:53], vcc
; %bb.188:                              ;   in Loop: Header=BB12_124 Depth=2
	v_or_b32_e32 v30, 0x10000, v36
	v_cmp_eq_u32_sdwa vcc, v36, v31 src0_sel:WORD_0 src1_sel:DWORD
	s_nop 1
	v_cndmask_b32_e32 v30, v30, v36, vcc
	v_accvgpr_write_b32 a9, v30
; %bb.189:                              ;   in Loop: Header=BB12_124 Depth=2
	s_or_b64 exec, exec, s[52:53]
	v_accvgpr_read_b32 v32, a52
	v_lshlrev_b32_e32 v30, 16, v26
	v_accvgpr_read_b32 v33, a53
	v_lshlrev_b32_e32 v32, 16, v32
	v_pk_mul_f32 v[36:37], v[30:31], v[32:33] op_sel_hi:[0,1]
	v_and_b32_e32 v30, 0x7f800000, v36
	v_cmp_ne_u32_e32 vcc, s72, v30
	v_accvgpr_read_b32 v34, a54
	v_accvgpr_read_b32 v35, a55
                                        ; implicit-def: $vgpr38
	s_and_saveexec_b64 s[52:53], vcc
	s_xor_b64 vcc, exec, s[52:53]
; %bb.190:                              ;   in Loop: Header=BB12_124 Depth=2
	v_bfe_u32 v30, v36, 16, 1
	v_add3_u32 v38, v36, v30, s73
                                        ; implicit-def: $vgpr36_vgpr37
; %bb.191:                              ;   in Loop: Header=BB12_124 Depth=2
	s_andn2_saveexec_b64 s[52:53], vcc
; %bb.192:                              ;   in Loop: Header=BB12_124 Depth=2
	v_or_b32_e32 v30, 0x10000, v36
	v_cmp_eq_u32_sdwa vcc, v36, v31 src0_sel:WORD_0 src1_sel:DWORD
	s_nop 1
	v_cndmask_b32_e32 v38, v30, v36, vcc
; %bb.193:                              ;   in Loop: Header=BB12_124 Depth=2
	s_or_b64 exec, exec, s[52:53]
	v_accvgpr_read_b32 v32, a52
	v_accvgpr_read_b32 v33, a53
	v_mov_b32_e32 v30, v32
	v_mov_b32_e32 v33, v26
	v_and_b32_e32 v26, 0xffff0000, v33
	v_and_b32_e32 v30, 0xffff0000, v30
	v_pk_mul_f32 v[36:37], v[26:27], v[30:31] op_sel_hi:[0,1]
	v_and_b32_e32 v26, 0x7f800000, v36
	v_cmp_ne_u32_e32 vcc, s72, v26
	v_accvgpr_read_b32 v34, a54
	v_accvgpr_read_b32 v35, a55
                                        ; implicit-def: $vgpr39
	s_and_saveexec_b64 s[52:53], vcc
	s_xor_b64 vcc, exec, s[52:53]
; %bb.194:                              ;   in Loop: Header=BB12_124 Depth=2
	v_bfe_u32 v26, v36, 16, 1
	v_add3_u32 v39, v36, v26, s73
                                        ; implicit-def: $vgpr36_vgpr37
; %bb.195:                              ;   in Loop: Header=BB12_124 Depth=2
	s_andn2_saveexec_b64 s[52:53], vcc
; %bb.196:                              ;   in Loop: Header=BB12_124 Depth=2
	v_or_b32_e32 v26, 0x10000, v36
	v_cmp_eq_u32_sdwa vcc, v36, v31 src0_sel:WORD_0 src1_sel:DWORD
	s_nop 1
	v_cndmask_b32_e32 v39, v26, v36, vcc
; %bb.197:                              ;   in Loop: Header=BB12_124 Depth=2
	s_or_b64 exec, exec, s[52:53]
	v_accvgpr_read_b32 v32, a52
	v_accvgpr_read_b32 v33, a53
	v_lshlrev_b32_e32 v26, 16, v27
	v_lshlrev_b32_e32 v30, 16, v33
	v_pk_mul_f32 v[36:37], v[26:27], v[30:31] op_sel_hi:[0,1]
	v_and_b32_e32 v26, 0x7f800000, v36
	v_accvgpr_read_b32 v34, a54
	v_cmp_ne_u32_e32 vcc, s72, v26
	v_accvgpr_read_b32 v35, a55
                                        ; implicit-def: $vgpr34
	s_and_saveexec_b64 s[52:53], vcc
	s_xor_b64 vcc, exec, s[52:53]
; %bb.198:                              ;   in Loop: Header=BB12_124 Depth=2
	v_bfe_u32 v26, v36, 16, 1
	v_add3_u32 v34, v36, v26, s73
                                        ; implicit-def: $vgpr36_vgpr37
; %bb.199:                              ;   in Loop: Header=BB12_124 Depth=2
	s_andn2_saveexec_b64 s[52:53], vcc
; %bb.200:                              ;   in Loop: Header=BB12_124 Depth=2
	v_or_b32_e32 v26, 0x10000, v36
	v_cmp_eq_u32_sdwa vcc, v36, v31 src0_sel:WORD_0 src1_sel:DWORD
	s_nop 1
	v_cndmask_b32_e32 v34, v26, v36, vcc
; %bb.201:                              ;   in Loop: Header=BB12_124 Depth=2
	s_or_b64 exec, exec, s[52:53]
	v_accvgpr_read_b32 v59, a55
	v_accvgpr_read_b32 v57, a53
	v_mov_b32_e32 v26, v57
	v_and_b32_e32 v30, 0xffff0000, v27
	v_and_b32_e32 v26, 0xffff0000, v26
	v_pk_mul_f32 v[26:27], v[30:31], v[26:27] op_sel_hi:[0,1]
	v_and_b32_e32 v27, 0x7f800000, v26
	v_cmp_ne_u32_e32 vcc, s72, v27
	v_accvgpr_read_b32 v58, a54
	v_accvgpr_read_b32 v56, a52
                                        ; implicit-def: $vgpr36
	s_and_saveexec_b64 s[52:53], vcc
	s_xor_b64 vcc, exec, s[52:53]
; %bb.202:                              ;   in Loop: Header=BB12_124 Depth=2
	v_bfe_u32 v27, v26, 16, 1
	v_add3_u32 v36, v26, v27, s73
                                        ; implicit-def: $vgpr26_vgpr27
; %bb.203:                              ;   in Loop: Header=BB12_124 Depth=2
	s_andn2_saveexec_b64 s[52:53], vcc
; %bb.204:                              ;   in Loop: Header=BB12_124 Depth=2
	v_or_b32_e32 v27, 0x10000, v26
	v_cmp_eq_u32_sdwa vcc, v26, v31 src0_sel:WORD_0 src1_sel:DWORD
	s_nop 1
	v_cndmask_b32_e32 v36, v27, v26, vcc
; %bb.205:                              ;   in Loop: Header=BB12_124 Depth=2
	s_or_b64 exec, exec, s[52:53]
	v_accvgpr_read_b32 v59, a55
	v_accvgpr_read_b32 v58, a54
	v_lshlrev_b32_e32 v26, 16, v28
	v_lshlrev_b32_e32 v30, 16, v58
	v_pk_mul_f32 v[26:27], v[26:27], v[30:31] op_sel_hi:[0,1]
	v_and_b32_e32 v27, 0x7f800000, v26
	v_cmp_ne_u32_e32 vcc, s72, v27
	v_accvgpr_read_b32 v57, a53
	v_accvgpr_read_b32 v56, a52
                                        ; implicit-def: $vgpr37
	s_and_saveexec_b64 s[52:53], vcc
	s_xor_b64 vcc, exec, s[52:53]
; %bb.206:                              ;   in Loop: Header=BB12_124 Depth=2
	v_bfe_u32 v27, v26, 16, 1
	v_add3_u32 v37, v26, v27, s73
                                        ; implicit-def: $vgpr26_vgpr27
; %bb.207:                              ;   in Loop: Header=BB12_124 Depth=2
	s_andn2_saveexec_b64 s[52:53], vcc
; %bb.208:                              ;   in Loop: Header=BB12_124 Depth=2
	v_or_b32_e32 v27, 0x10000, v26
	v_cmp_eq_u32_sdwa vcc, v26, v31 src0_sel:WORD_0 src1_sel:DWORD
	s_nop 1
	v_cndmask_b32_e32 v37, v27, v26, vcc
; %bb.209:                              ;   in Loop: Header=BB12_124 Depth=2
	s_or_b64 exec, exec, s[52:53]
	v_accvgpr_read_b32 v59, a55
	v_accvgpr_read_b32 v58, a54
	v_mov_b32_e32 v26, v58
	v_mov_b32_e32 v27, v28
	v_and_b32_e32 v28, 0xffff0000, v27
	v_and_b32_e32 v26, 0xffff0000, v26
	v_pk_mul_f32 v[26:27], v[28:29], v[26:27] op_sel_hi:[0,1]
	v_and_b32_e32 v27, 0x7f800000, v26
	v_cmp_ne_u32_e32 vcc, s72, v27
	v_accvgpr_read_b32 v57, a53
	v_accvgpr_read_b32 v56, a52
                                        ; implicit-def: $vgpr28
	s_and_saveexec_b64 s[52:53], vcc
	s_xor_b64 vcc, exec, s[52:53]
; %bb.210:                              ;   in Loop: Header=BB12_124 Depth=2
	v_bfe_u32 v27, v26, 16, 1
	v_add3_u32 v28, v26, v27, s73
                                        ; implicit-def: $vgpr26_vgpr27
; %bb.211:                              ;   in Loop: Header=BB12_124 Depth=2
	s_andn2_saveexec_b64 s[52:53], vcc
; %bb.212:                              ;   in Loop: Header=BB12_124 Depth=2
	v_or_b32_e32 v27, 0x10000, v26
	v_cmp_eq_u32_sdwa vcc, v26, v31 src0_sel:WORD_0 src1_sel:DWORD
	s_nop 1
	v_cndmask_b32_e32 v28, v27, v26, vcc
; %bb.213:                              ;   in Loop: Header=BB12_124 Depth=2
	s_or_b64 exec, exec, s[52:53]
	v_accvgpr_read_b32 v59, a55
	v_lshlrev_b32_e32 v26, 16, v29
	v_lshlrev_b32_e32 v30, 16, v59
	v_pk_mul_f32 v[26:27], v[26:27], v[30:31] op_sel_hi:[0,1]
	v_and_b32_e32 v27, 0x7f800000, v26
	v_cmp_ne_u32_e32 vcc, s72, v27
	v_accvgpr_read_b32 v58, a54
	v_accvgpr_read_b32 v57, a53
	;; [unrolled: 1-line block ×3, first 2 shown]
                                        ; implicit-def: $vgpr35
	s_and_saveexec_b64 s[52:53], vcc
	s_xor_b64 vcc, exec, s[52:53]
; %bb.214:                              ;   in Loop: Header=BB12_124 Depth=2
	v_bfe_u32 v27, v26, 16, 1
	v_add3_u32 v35, v26, v27, s73
                                        ; implicit-def: $vgpr26_vgpr27
; %bb.215:                              ;   in Loop: Header=BB12_124 Depth=2
	s_andn2_saveexec_b64 s[52:53], vcc
; %bb.216:                              ;   in Loop: Header=BB12_124 Depth=2
	v_or_b32_e32 v27, 0x10000, v26
	v_cmp_eq_u32_sdwa vcc, v26, v31 src0_sel:WORD_0 src1_sel:DWORD
	s_nop 1
	v_cndmask_b32_e32 v35, v27, v26, vcc
; %bb.217:                              ;   in Loop: Header=BB12_124 Depth=2
	s_or_b64 exec, exec, s[52:53]
	v_accvgpr_read_b32 v59, a55
	v_mov_b32_e32 v26, v59
	v_and_b32_e32 v30, 0xffff0000, v29
	v_and_b32_e32 v26, 0xffff0000, v26
	v_pk_mul_f32 v[26:27], v[30:31], v[26:27] op_sel_hi:[0,1]
	v_and_b32_e32 v27, 0x7f800000, v26
	v_cmp_ne_u32_e32 vcc, s72, v27
	v_accvgpr_read_b32 v58, a54
	v_accvgpr_read_b32 v57, a53
	;; [unrolled: 1-line block ×3, first 2 shown]
                                        ; implicit-def: $vgpr29
	s_and_saveexec_b64 s[52:53], vcc
	s_xor_b64 vcc, exec, s[52:53]
; %bb.218:                              ;   in Loop: Header=BB12_124 Depth=2
	v_bfe_u32 v27, v26, 16, 1
	v_add3_u32 v29, v26, v27, s73
                                        ; implicit-def: $vgpr26_vgpr27
; %bb.219:                              ;   in Loop: Header=BB12_124 Depth=2
	s_andn2_saveexec_b64 s[52:53], vcc
; %bb.220:                              ;   in Loop: Header=BB12_124 Depth=2
	v_or_b32_e32 v27, 0x10000, v26
	v_cmp_eq_u32_sdwa vcc, v26, v31 src0_sel:WORD_0 src1_sel:DWORD
	s_nop 1
	v_cndmask_b32_e32 v29, v27, v26, vcc
; %bb.221:                              ;   in Loop: Header=BB12_124 Depth=2
	s_or_b64 exec, exec, s[52:53]
	v_accvgpr_read_b32 v61, a7
	v_accvgpr_read_b32 v58, a4
	v_lshlrev_b32_e32 v26, 16, v14
	v_lshlrev_b32_e32 v30, 16, v58
	v_pk_mul_f32 v[26:27], v[26:27], v[30:31] op_sel_hi:[0,1]
	v_and_b32_e32 v27, 0x7f800000, v26
	v_accvgpr_read_b32 v60, a6
	v_cmp_ne_u32_e32 vcc, s72, v27
	v_accvgpr_read_b32 v59, a5
                                        ; implicit-def: $vgpr60
	s_and_saveexec_b64 s[52:53], vcc
	s_xor_b64 vcc, exec, s[52:53]
; %bb.222:                              ;   in Loop: Header=BB12_124 Depth=2
	v_bfe_u32 v27, v26, 16, 1
	v_add3_u32 v60, v26, v27, s73
                                        ; implicit-def: $vgpr26_vgpr27
; %bb.223:                              ;   in Loop: Header=BB12_124 Depth=2
	s_andn2_saveexec_b64 s[52:53], vcc
; %bb.224:                              ;   in Loop: Header=BB12_124 Depth=2
	v_or_b32_e32 v27, 0x10000, v26
	v_cmp_eq_u32_sdwa vcc, v26, v31 src0_sel:WORD_0 src1_sel:DWORD
	s_nop 1
	v_cndmask_b32_e32 v60, v27, v26, vcc
; %bb.225:                              ;   in Loop: Header=BB12_124 Depth=2
	s_or_b64 exec, exec, s[52:53]
	v_accvgpr_mov_b32 a45, a7
	v_accvgpr_mov_b32 a42, a4
	v_accvgpr_read_b32 v26, a42
	v_mov_b32_e32 v27, v14
	v_and_b32_e32 v14, 0xffff0000, v27
	v_and_b32_e32 v26, 0xffff0000, v26
	v_pk_mul_f32 v[26:27], v[14:15], v[26:27] op_sel_hi:[0,1]
	v_and_b32_e32 v14, 0x7f800000, v26
	v_cmp_ne_u32_e32 vcc, s72, v14
	v_accvgpr_mov_b32 a44, a6
	v_accvgpr_mov_b32 a43, a5
                                        ; implicit-def: $vgpr61
	s_and_saveexec_b64 s[52:53], vcc
	s_xor_b64 vcc, exec, s[52:53]
; %bb.226:                              ;   in Loop: Header=BB12_124 Depth=2
	v_bfe_u32 v14, v26, 16, 1
	v_add3_u32 v61, v26, v14, s73
                                        ; implicit-def: $vgpr26_vgpr27
; %bb.227:                              ;   in Loop: Header=BB12_124 Depth=2
	s_andn2_saveexec_b64 s[52:53], vcc
; %bb.228:                              ;   in Loop: Header=BB12_124 Depth=2
	v_or_b32_e32 v14, 0x10000, v26
	v_cmp_eq_u32_sdwa vcc, v26, v31 src0_sel:WORD_0 src1_sel:DWORD
	s_nop 1
	v_cndmask_b32_e32 v61, v14, v26, vcc
; %bb.229:                              ;   in Loop: Header=BB12_124 Depth=2
	s_or_b64 exec, exec, s[52:53]
	v_accvgpr_read_b32 v59, a7
	v_accvgpr_read_b32 v57, a5
	v_lshlrev_b32_e32 v14, 16, v15
	v_lshlrev_b32_e32 v26, 16, v57
	v_pk_mul_f32 v[26:27], v[14:15], v[26:27] op_sel_hi:[0,1]
	v_and_b32_e32 v14, 0x7f800000, v26
	v_cmp_ne_u32_e32 vcc, s72, v14
	v_accvgpr_read_b32 v58, a6
	v_accvgpr_read_b32 v56, a4
                                        ; implicit-def: $vgpr62
	s_and_saveexec_b64 s[52:53], vcc
	s_xor_b64 vcc, exec, s[52:53]
; %bb.230:                              ;   in Loop: Header=BB12_124 Depth=2
	v_bfe_u32 v14, v26, 16, 1
	v_add3_u32 v62, v26, v14, s73
                                        ; implicit-def: $vgpr26_vgpr27
; %bb.231:                              ;   in Loop: Header=BB12_124 Depth=2
	s_andn2_saveexec_b64 s[52:53], vcc
; %bb.232:                              ;   in Loop: Header=BB12_124 Depth=2
	v_or_b32_e32 v14, 0x10000, v26
	v_cmp_eq_u32_sdwa vcc, v26, v31 src0_sel:WORD_0 src1_sel:DWORD
	s_nop 1
	v_cndmask_b32_e32 v62, v14, v26, vcc
; %bb.233:                              ;   in Loop: Header=BB12_124 Depth=2
	s_or_b64 exec, exec, s[52:53]
	v_accvgpr_read_b32 v59, a7
	v_accvgpr_read_b32 v57, a5
	v_mov_b32_e32 v14, v57
	v_and_b32_e32 v26, 0xffff0000, v15
	v_and_b32_e32 v14, 0xffff0000, v14
	v_pk_mul_f32 v[14:15], v[26:27], v[14:15] op_sel_hi:[0,1]
	v_and_b32_e32 v15, 0x7f800000, v14
	v_cmp_ne_u32_e32 vcc, s72, v15
	v_accvgpr_read_b32 v58, a6
	v_accvgpr_read_b32 v56, a4
                                        ; implicit-def: $vgpr32
	s_and_saveexec_b64 s[52:53], vcc
	s_xor_b64 vcc, exec, s[52:53]
; %bb.234:                              ;   in Loop: Header=BB12_124 Depth=2
	v_bfe_u32 v15, v14, 16, 1
	v_add3_u32 v32, v14, v15, s73
                                        ; implicit-def: $vgpr14_vgpr15
; %bb.235:                              ;   in Loop: Header=BB12_124 Depth=2
	s_andn2_saveexec_b64 s[52:53], vcc
; %bb.236:                              ;   in Loop: Header=BB12_124 Depth=2
	v_or_b32_e32 v15, 0x10000, v14
	v_cmp_eq_u32_sdwa vcc, v14, v31 src0_sel:WORD_0 src1_sel:DWORD
	s_nop 1
	v_cndmask_b32_e32 v32, v15, v14, vcc
; %bb.237:                              ;   in Loop: Header=BB12_124 Depth=2
	s_or_b64 exec, exec, s[52:53]
	v_accvgpr_read_b32 v59, a7
	v_accvgpr_read_b32 v58, a6
	v_lshlrev_b32_e32 v14, 16, v16
	v_lshlrev_b32_e32 v26, 16, v58
	v_pk_mul_f32 v[14:15], v[14:15], v[26:27] op_sel_hi:[0,1]
	v_and_b32_e32 v15, 0x7f800000, v14
	v_cmp_ne_u32_e32 vcc, s72, v15
	v_accvgpr_read_b32 v57, a5
	v_accvgpr_read_b32 v56, a4
                                        ; implicit-def: $vgpr33
	s_and_saveexec_b64 s[52:53], vcc
	s_xor_b64 vcc, exec, s[52:53]
; %bb.238:                              ;   in Loop: Header=BB12_124 Depth=2
	v_bfe_u32 v15, v14, 16, 1
	v_add3_u32 v33, v14, v15, s73
                                        ; implicit-def: $vgpr14_vgpr15
; %bb.239:                              ;   in Loop: Header=BB12_124 Depth=2
	s_andn2_saveexec_b64 s[52:53], vcc
; %bb.240:                              ;   in Loop: Header=BB12_124 Depth=2
	v_or_b32_e32 v15, 0x10000, v14
	v_cmp_eq_u32_sdwa vcc, v14, v31 src0_sel:WORD_0 src1_sel:DWORD
	s_nop 1
	v_cndmask_b32_e32 v33, v15, v14, vcc
; %bb.241:                              ;   in Loop: Header=BB12_124 Depth=2
	s_or_b64 exec, exec, s[52:53]
	v_accvgpr_read_b32 v59, a7
	v_accvgpr_read_b32 v58, a6
	v_mov_b32_e32 v14, v58
	v_mov_b32_e32 v15, v16
	v_and_b32_e32 v16, 0xffff0000, v15
	v_and_b32_e32 v14, 0xffff0000, v14
	v_pk_mul_f32 v[14:15], v[16:17], v[14:15] op_sel_hi:[0,1]
	v_and_b32_e32 v15, 0x7f800000, v14
	v_cmp_ne_u32_e32 vcc, s72, v15
	v_accvgpr_read_b32 v57, a5
	v_accvgpr_read_b32 v56, a4
                                        ; implicit-def: $vgpr16
	s_and_saveexec_b64 s[52:53], vcc
	s_xor_b64 vcc, exec, s[52:53]
; %bb.242:                              ;   in Loop: Header=BB12_124 Depth=2
	v_bfe_u32 v15, v14, 16, 1
	v_add3_u32 v16, v14, v15, s73
                                        ; implicit-def: $vgpr14_vgpr15
; %bb.243:                              ;   in Loop: Header=BB12_124 Depth=2
	s_andn2_saveexec_b64 s[52:53], vcc
; %bb.244:                              ;   in Loop: Header=BB12_124 Depth=2
	v_or_b32_e32 v15, 0x10000, v14
	v_cmp_eq_u32_sdwa vcc, v14, v31 src0_sel:WORD_0 src1_sel:DWORD
	s_nop 1
	v_cndmask_b32_e32 v16, v15, v14, vcc
; %bb.245:                              ;   in Loop: Header=BB12_124 Depth=2
	s_or_b64 exec, exec, s[52:53]
	v_accvgpr_read_b32 v59, a7
	v_lshlrev_b32_e32 v14, 16, v17
	v_lshlrev_b32_e32 v26, 16, v59
	v_pk_mul_f32 v[14:15], v[14:15], v[26:27] op_sel_hi:[0,1]
	v_and_b32_e32 v15, 0x7f800000, v14
	v_cmp_ne_u32_e32 vcc, s72, v15
	v_accvgpr_read_b32 v58, a6
	v_accvgpr_read_b32 v57, a5
	v_accvgpr_read_b32 v56, a4
                                        ; implicit-def: $vgpr30
	s_and_saveexec_b64 s[52:53], vcc
	s_xor_b64 vcc, exec, s[52:53]
; %bb.246:                              ;   in Loop: Header=BB12_124 Depth=2
	v_bfe_u32 v15, v14, 16, 1
	v_add3_u32 v30, v14, v15, s73
                                        ; implicit-def: $vgpr14_vgpr15
; %bb.247:                              ;   in Loop: Header=BB12_124 Depth=2
	s_andn2_saveexec_b64 s[52:53], vcc
; %bb.248:                              ;   in Loop: Header=BB12_124 Depth=2
	v_or_b32_e32 v15, 0x10000, v14
	v_cmp_eq_u32_sdwa vcc, v14, v31 src0_sel:WORD_0 src1_sel:DWORD
	s_nop 1
	v_cndmask_b32_e32 v30, v15, v14, vcc
; %bb.249:                              ;   in Loop: Header=BB12_124 Depth=2
	s_or_b64 exec, exec, s[52:53]
	v_accvgpr_read_b32 v59, a7
	v_mov_b32_e32 v14, v59
	v_and_b32_e32 v26, 0xffff0000, v17
	v_and_b32_e32 v14, 0xffff0000, v14
	v_pk_mul_f32 v[14:15], v[26:27], v[14:15] op_sel_hi:[0,1]
	v_and_b32_e32 v15, 0x7f800000, v14
	v_cmp_ne_u32_e32 vcc, s72, v15
	v_accvgpr_read_b32 v58, a6
	v_accvgpr_read_b32 v57, a5
	;; [unrolled: 1-line block ×3, first 2 shown]
                                        ; implicit-def: $vgpr17
	s_and_saveexec_b64 s[52:53], vcc
	s_xor_b64 vcc, exec, s[52:53]
; %bb.250:                              ;   in Loop: Header=BB12_124 Depth=2
	v_bfe_u32 v15, v14, 16, 1
	v_add3_u32 v17, v14, v15, s73
                                        ; implicit-def: $vgpr14_vgpr15
; %bb.251:                              ;   in Loop: Header=BB12_124 Depth=2
	s_andn2_saveexec_b64 s[52:53], vcc
; %bb.252:                              ;   in Loop: Header=BB12_124 Depth=2
	v_or_b32_e32 v15, 0x10000, v14
	v_cmp_eq_u32_sdwa vcc, v14, v31 src0_sel:WORD_0 src1_sel:DWORD
	s_nop 1
	v_cndmask_b32_e32 v17, v15, v14, vcc
; %bb.253:                              ;   in Loop: Header=BB12_124 Depth=2
	s_or_b64 exec, exec, s[52:53]
	v_lshrrev_b32_e32 v14, 16, v34
	v_and_or_b32 v27, v36, s74, v14
	v_lshrrev_b32_e32 v14, 16, v38
	v_and_or_b32 v26, v39, s74, v14
	;; [unrolled: 2-line block ×4, first 2 shown]
	v_accvgpr_read_b32 v14, a56
	v_lshrrev_b32_e32 v14, 16, v14
	v_accvgpr_read_b32 v15, a57
	v_and_or_b32 v37, v15, s74, v14
	v_accvgpr_read_b32 v14, a1
	v_lshrrev_b32_e32 v14, 16, v14
	v_accvgpr_read_b32 v15, a46
	v_and_or_b32 v36, v15, s74, v14
	;; [unrolled: 4-line block ×8, first 2 shown]
	v_lshrrev_b32_e32 v14, 16, v62
	v_and_or_b32 v15, v32, s74, v14
	v_lshrrev_b32_e32 v32, 16, v33
	v_and_or_b32 v16, v16, s74, v32
	v_accvgpr_read_b32 v33, a11
	v_lshrrev_b32_e32 v14, 16, v60
	v_lshrrev_b32_e32 v30, 16, v30
	v_accvgpr_read_b32 v32, a10
	v_and_or_b32 v14, v61, s74, v14
	v_and_or_b32 v17, v17, s74, v30
	global_store_dwordx4 v[0:1], v[56:59], off nt
	global_store_dwordx4 v[0:1], v[36:39], off offset:1024 nt
	global_store_dwordx4 v[0:1], v[26:29], off offset:2048 nt
	;; [unrolled: 1-line block ×3, first 2 shown]
	v_lshl_add_u64 v[0:1], v[0:1], 0, v[32:33]
.LBB12_254:                             ;   in Loop: Header=BB12_124 Depth=2
	s_or_b64 exec, exec, s[54:55]
	v_accvgpr_read_b32 v33, a11
	v_accvgpr_read_b32 v32, a10
	v_lshl_add_u64 v[24:25], v[24:25], 0, v[32:33]
	v_lshl_add_u64 v[22:23], v[22:23], 0, v[32:33]
	v_accvgpr_read_b32 v33, a3
	v_accvgpr_read_b32 v32, a2
	;; [unrolled: 1-line block ×3, first 2 shown]
	v_sub_u32_e32 v30, v30, v32
	v_accvgpr_write_b32 a12, v30
	v_cmp_lt_i32_e64 s[52:53], 0, v30
	s_and_saveexec_b64 vcc, s[52:53]
	s_cbranch_execz .LBB12_256
; %bb.255:                              ;   in Loop: Header=BB12_124 Depth=2
	global_load_dwordx4 v[56:59], v[24:25], off nt
	global_load_dwordx4 v[36:39], v[24:25], off offset:1024 nt
	global_load_dwordx4 v[26:29], v[24:25], off offset:2048 nt
	;; [unrolled: 1-line block ×3, first 2 shown]
	global_load_dwordx4 a[58:61], v[22:23], off nt
	global_load_dwordx4 a[20:23], v[22:23], off offset:1024 nt
	global_load_dwordx4 a[52:55], v[22:23], off offset:2048 nt
	;; [unrolled: 1-line block ×3, first 2 shown]
	v_lshl_add_u64 v[24:25], v[24:25], 0, s[36:37]
	v_lshl_add_u64 v[22:23], v[22:23], 0, s[36:37]
.LBB12_256:                             ;   in Loop: Header=BB12_124 Depth=2
	s_or_b64 exec, exec, vcc
	s_waitcnt vmcnt(3)
	v_lshlrev_b32_e32 v30, 16, v10
	v_lshlrev_b32_e32 v32, 16, v18
	v_pk_mul_f32 v[60:61], v[30:31], v[32:33] op_sel_hi:[0,1]
	v_and_b32_e32 v30, 0x7f800000, v60
	v_cmp_ne_u32_e32 vcc, s72, v30
                                        ; implicit-def: $agpr13
	s_and_saveexec_b64 s[54:55], vcc
	s_xor_b64 vcc, exec, s[54:55]
; %bb.257:                              ;   in Loop: Header=BB12_124 Depth=2
	v_bfe_u32 v30, v60, 16, 1
	v_add3_u32 v30, v60, v30, s73
	v_accvgpr_write_b32 a13, v30
                                        ; implicit-def: $vgpr60_vgpr61
; %bb.258:                              ;   in Loop: Header=BB12_124 Depth=2
	s_andn2_saveexec_b64 s[54:55], vcc
; %bb.259:                              ;   in Loop: Header=BB12_124 Depth=2
	v_or_b32_e32 v30, 0x10000, v60
	v_cmp_eq_u32_sdwa vcc, v60, v31 src0_sel:WORD_0 src1_sel:DWORD
	s_nop 1
	v_cndmask_b32_e32 v30, v30, v60, vcc
	v_accvgpr_write_b32 a13, v30
; %bb.260:                              ;   in Loop: Header=BB12_124 Depth=2
	s_or_b64 exec, exec, s[54:55]
	v_and_b32_e32 v10, 0xffff0000, v10
	v_and_b32_e32 v18, 0xffff0000, v18
	v_pk_mul_f32 v[60:61], v[10:11], v[18:19] op_sel_hi:[0,1]
	v_and_b32_e32 v10, 0x7f800000, v60
	v_cmp_ne_u32_e32 vcc, s72, v10
                                        ; implicit-def: $vgpr30
	s_and_saveexec_b64 s[54:55], vcc
	s_xor_b64 vcc, exec, s[54:55]
; %bb.261:                              ;   in Loop: Header=BB12_124 Depth=2
	v_bfe_u32 v10, v60, 16, 1
	v_add3_u32 v30, v60, v10, s73
                                        ; implicit-def: $vgpr60_vgpr61
; %bb.262:                              ;   in Loop: Header=BB12_124 Depth=2
	s_andn2_saveexec_b64 s[54:55], vcc
; %bb.263:                              ;   in Loop: Header=BB12_124 Depth=2
	v_or_b32_e32 v10, 0x10000, v60
	v_cmp_eq_u32_sdwa vcc, v60, v31 src0_sel:WORD_0 src1_sel:DWORD
	s_nop 1
	v_cndmask_b32_e32 v30, v10, v60, vcc
; %bb.264:                              ;   in Loop: Header=BB12_124 Depth=2
	s_or_b64 exec, exec, s[54:55]
	v_lshlrev_b32_e32 v10, 16, v11
	v_lshlrev_b32_e32 v18, 16, v19
	v_pk_mul_f32 v[60:61], v[10:11], v[18:19] op_sel_hi:[0,1]
	v_and_b32_e32 v10, 0x7f800000, v60
	v_cmp_ne_u32_e32 vcc, s72, v10
                                        ; implicit-def: $vgpr62
	s_and_saveexec_b64 s[54:55], vcc
	s_xor_b64 vcc, exec, s[54:55]
; %bb.265:                              ;   in Loop: Header=BB12_124 Depth=2
	v_bfe_u32 v10, v60, 16, 1
	v_add3_u32 v62, v60, v10, s73
                                        ; implicit-def: $vgpr60_vgpr61
; %bb.266:                              ;   in Loop: Header=BB12_124 Depth=2
	s_andn2_saveexec_b64 s[54:55], vcc
; %bb.267:                              ;   in Loop: Header=BB12_124 Depth=2
	v_or_b32_e32 v10, 0x10000, v60
	v_cmp_eq_u32_sdwa vcc, v60, v31 src0_sel:WORD_0 src1_sel:DWORD
	s_nop 1
	v_cndmask_b32_e32 v62, v10, v60, vcc
; %bb.268:                              ;   in Loop: Header=BB12_124 Depth=2
	s_or_b64 exec, exec, s[54:55]
	v_and_b32_e32 v10, 0xffff0000, v11
	v_and_b32_e32 v18, 0xffff0000, v19
	v_pk_mul_f32 v[10:11], v[10:11], v[18:19] op_sel_hi:[0,1]
	v_and_b32_e32 v11, 0x7f800000, v10
	v_cmp_ne_u32_e32 vcc, s72, v11
                                        ; implicit-def: $vgpr60
	s_and_saveexec_b64 s[54:55], vcc
	s_xor_b64 vcc, exec, s[54:55]
; %bb.269:                              ;   in Loop: Header=BB12_124 Depth=2
	v_bfe_u32 v11, v10, 16, 1
	v_add3_u32 v60, v10, v11, s73
                                        ; implicit-def: $vgpr10_vgpr11
; %bb.270:                              ;   in Loop: Header=BB12_124 Depth=2
	s_andn2_saveexec_b64 s[54:55], vcc
; %bb.271:                              ;   in Loop: Header=BB12_124 Depth=2
	v_or_b32_e32 v11, 0x10000, v10
	v_cmp_eq_u32_sdwa vcc, v10, v31 src0_sel:WORD_0 src1_sel:DWORD
	s_nop 1
	v_cndmask_b32_e32 v60, v11, v10, vcc
; %bb.272:                              ;   in Loop: Header=BB12_124 Depth=2
	s_or_b64 exec, exec, s[54:55]
	v_lshlrev_b32_e32 v10, 16, v12
	v_lshlrev_b32_e32 v18, 16, v20
	v_pk_mul_f32 v[10:11], v[10:11], v[18:19] op_sel_hi:[0,1]
	v_and_b32_e32 v11, 0x7f800000, v10
	v_cmp_ne_u32_e32 vcc, s72, v11
                                        ; implicit-def: $vgpr61
	s_and_saveexec_b64 s[54:55], vcc
	s_xor_b64 vcc, exec, s[54:55]
; %bb.273:                              ;   in Loop: Header=BB12_124 Depth=2
	v_bfe_u32 v11, v10, 16, 1
	v_add3_u32 v61, v10, v11, s73
                                        ; implicit-def: $vgpr10_vgpr11
; %bb.274:                              ;   in Loop: Header=BB12_124 Depth=2
	s_andn2_saveexec_b64 s[54:55], vcc
; %bb.275:                              ;   in Loop: Header=BB12_124 Depth=2
	v_or_b32_e32 v11, 0x10000, v10
	v_cmp_eq_u32_sdwa vcc, v10, v31 src0_sel:WORD_0 src1_sel:DWORD
	s_nop 1
	v_cndmask_b32_e32 v61, v11, v10, vcc
; %bb.276:                              ;   in Loop: Header=BB12_124 Depth=2
	s_or_b64 exec, exec, s[54:55]
	v_and_b32_e32 v10, 0xffff0000, v12
	v_and_b32_e32 v12, 0xffff0000, v20
	v_pk_mul_f32 v[10:11], v[10:11], v[12:13] op_sel_hi:[0,1]
	v_and_b32_e32 v11, 0x7f800000, v10
	v_cmp_ne_u32_e32 vcc, s72, v11
                                        ; implicit-def: $vgpr12
	s_and_saveexec_b64 s[54:55], vcc
	s_xor_b64 vcc, exec, s[54:55]
; %bb.277:                              ;   in Loop: Header=BB12_124 Depth=2
	v_bfe_u32 v11, v10, 16, 1
	v_add3_u32 v12, v10, v11, s73
                                        ; implicit-def: $vgpr10_vgpr11
; %bb.278:                              ;   in Loop: Header=BB12_124 Depth=2
	s_andn2_saveexec_b64 s[54:55], vcc
; %bb.279:                              ;   in Loop: Header=BB12_124 Depth=2
	v_or_b32_e32 v11, 0x10000, v10
	v_cmp_eq_u32_sdwa vcc, v10, v31 src0_sel:WORD_0 src1_sel:DWORD
	s_nop 1
	v_cndmask_b32_e32 v12, v11, v10, vcc
; %bb.280:                              ;   in Loop: Header=BB12_124 Depth=2
	s_or_b64 exec, exec, s[54:55]
	v_mov_b32_e32 v11, v21
	v_lshlrev_b32_e32 v10, 16, v13
	v_lshlrev_b32_e32 v18, 16, v11
	v_pk_mul_f32 v[18:19], v[10:11], v[18:19] op_sel_hi:[0,1]
	v_and_b32_e32 v10, 0x7f800000, v18
	v_cmp_ne_u32_e32 vcc, s72, v10
                                        ; implicit-def: $vgpr20
	s_and_saveexec_b64 s[54:55], vcc
	s_xor_b64 vcc, exec, s[54:55]
; %bb.281:                              ;   in Loop: Header=BB12_124 Depth=2
	v_bfe_u32 v10, v18, 16, 1
	v_add3_u32 v20, v18, v10, s73
                                        ; implicit-def: $vgpr18_vgpr19
; %bb.282:                              ;   in Loop: Header=BB12_124 Depth=2
	s_andn2_saveexec_b64 s[54:55], vcc
; %bb.283:                              ;   in Loop: Header=BB12_124 Depth=2
	v_or_b32_e32 v10, 0x10000, v18
	v_cmp_eq_u32_sdwa vcc, v18, v31 src0_sel:WORD_0 src1_sel:DWORD
	s_nop 1
	v_cndmask_b32_e32 v20, v10, v18, vcc
; %bb.284:                              ;   in Loop: Header=BB12_124 Depth=2
	s_or_b64 exec, exec, s[54:55]
	v_and_b32_e32 v10, 0xffff0000, v13
	v_and_b32_e32 v18, 0xffff0000, v11
	v_pk_mul_f32 v[10:11], v[10:11], v[18:19] op_sel_hi:[0,1]
	v_and_b32_e32 v11, 0x7f800000, v10
	v_cmp_ne_u32_e32 vcc, s72, v11
                                        ; implicit-def: $vgpr13
	s_and_saveexec_b64 s[54:55], vcc
	s_xor_b64 vcc, exec, s[54:55]
; %bb.285:                              ;   in Loop: Header=BB12_124 Depth=2
	v_bfe_u32 v11, v10, 16, 1
	v_add3_u32 v13, v10, v11, s73
                                        ; implicit-def: $vgpr10_vgpr11
; %bb.286:                              ;   in Loop: Header=BB12_124 Depth=2
	s_andn2_saveexec_b64 s[54:55], vcc
; %bb.287:                              ;   in Loop: Header=BB12_124 Depth=2
	v_or_b32_e32 v11, 0x10000, v10
	v_cmp_eq_u32_sdwa vcc, v10, v31 src0_sel:WORD_0 src1_sel:DWORD
	s_nop 1
	v_cndmask_b32_e32 v13, v11, v10, vcc
; %bb.288:                              ;   in Loop: Header=BB12_124 Depth=2
	s_or_b64 exec, exec, s[54:55]
	s_waitcnt vmcnt(2)
	v_lshlrev_b32_e32 v10, 16, v2
	v_lshlrev_b32_e32 v18, 16, v6
	v_pk_mul_f32 v[10:11], v[10:11], v[18:19] op_sel_hi:[0,1]
	v_and_b32_e32 v11, 0x7f800000, v10
	v_cmp_ne_u32_e32 vcc, s72, v11
                                        ; implicit-def: $vgpr18
	s_and_saveexec_b64 s[54:55], vcc
	s_xor_b64 vcc, exec, s[54:55]
; %bb.289:                              ;   in Loop: Header=BB12_124 Depth=2
	v_bfe_u32 v11, v10, 16, 1
	v_add3_u32 v18, v10, v11, s73
                                        ; implicit-def: $vgpr10_vgpr11
; %bb.290:                              ;   in Loop: Header=BB12_124 Depth=2
	s_andn2_saveexec_b64 s[54:55], vcc
; %bb.291:                              ;   in Loop: Header=BB12_124 Depth=2
	v_or_b32_e32 v11, 0x10000, v10
	v_cmp_eq_u32_sdwa vcc, v10, v31 src0_sel:WORD_0 src1_sel:DWORD
	s_nop 1
	v_cndmask_b32_e32 v18, v11, v10, vcc
; %bb.292:                              ;   in Loop: Header=BB12_124 Depth=2
	s_or_b64 exec, exec, s[54:55]
	v_and_b32_e32 v2, 0xffff0000, v2
	v_and_b32_e32 v6, 0xffff0000, v6
	v_pk_mul_f32 v[10:11], v[2:3], v[6:7] op_sel_hi:[0,1]
	v_and_b32_e32 v2, 0x7f800000, v10
	v_cmp_ne_u32_e32 vcc, s72, v2
                                        ; implicit-def: $vgpr19
	s_and_saveexec_b64 s[54:55], vcc
	s_xor_b64 vcc, exec, s[54:55]
; %bb.293:                              ;   in Loop: Header=BB12_124 Depth=2
	v_bfe_u32 v2, v10, 16, 1
	v_add3_u32 v19, v10, v2, s73
                                        ; implicit-def: $vgpr10_vgpr11
; %bb.294:                              ;   in Loop: Header=BB12_124 Depth=2
	s_andn2_saveexec_b64 s[54:55], vcc
; %bb.295:                              ;   in Loop: Header=BB12_124 Depth=2
	v_or_b32_e32 v2, 0x10000, v10
	v_cmp_eq_u32_sdwa vcc, v10, v31 src0_sel:WORD_0 src1_sel:DWORD
	s_nop 1
	v_cndmask_b32_e32 v19, v2, v10, vcc
; %bb.296:                              ;   in Loop: Header=BB12_124 Depth=2
	s_or_b64 exec, exec, s[54:55]
	v_lshlrev_b32_e32 v2, 16, v3
	v_lshlrev_b32_e32 v6, 16, v7
	v_pk_mul_f32 v[10:11], v[2:3], v[6:7] op_sel_hi:[0,1]
	v_and_b32_e32 v2, 0x7f800000, v10
	v_cmp_ne_u32_e32 vcc, s72, v2
                                        ; implicit-def: $vgpr21
	s_and_saveexec_b64 s[54:55], vcc
	s_xor_b64 vcc, exec, s[54:55]
; %bb.297:                              ;   in Loop: Header=BB12_124 Depth=2
	v_bfe_u32 v2, v10, 16, 1
	v_add3_u32 v21, v10, v2, s73
                                        ; implicit-def: $vgpr10_vgpr11
; %bb.298:                              ;   in Loop: Header=BB12_124 Depth=2
	s_andn2_saveexec_b64 s[54:55], vcc
; %bb.299:                              ;   in Loop: Header=BB12_124 Depth=2
	v_or_b32_e32 v2, 0x10000, v10
	v_cmp_eq_u32_sdwa vcc, v10, v31 src0_sel:WORD_0 src1_sel:DWORD
	s_nop 1
	v_cndmask_b32_e32 v21, v2, v10, vcc
; %bb.300:                              ;   in Loop: Header=BB12_124 Depth=2
	s_or_b64 exec, exec, s[54:55]
	v_and_b32_e32 v2, 0xffff0000, v3
	v_and_b32_e32 v6, 0xffff0000, v7
	v_pk_mul_f32 v[2:3], v[2:3], v[6:7] op_sel_hi:[0,1]
	v_and_b32_e32 v3, 0x7f800000, v2
	v_cmp_ne_u32_e32 vcc, s72, v3
                                        ; implicit-def: $vgpr10
	s_and_saveexec_b64 s[54:55], vcc
	s_xor_b64 vcc, exec, s[54:55]
; %bb.301:                              ;   in Loop: Header=BB12_124 Depth=2
	v_bfe_u32 v3, v2, 16, 1
	v_add3_u32 v10, v2, v3, s73
                                        ; implicit-def: $vgpr2_vgpr3
; %bb.302:                              ;   in Loop: Header=BB12_124 Depth=2
	s_andn2_saveexec_b64 s[54:55], vcc
; %bb.303:                              ;   in Loop: Header=BB12_124 Depth=2
	v_or_b32_e32 v3, 0x10000, v2
	v_cmp_eq_u32_sdwa vcc, v2, v31 src0_sel:WORD_0 src1_sel:DWORD
	s_nop 1
	v_cndmask_b32_e32 v10, v3, v2, vcc
; %bb.304:                              ;   in Loop: Header=BB12_124 Depth=2
	s_or_b64 exec, exec, s[54:55]
	v_lshlrev_b32_e32 v2, 16, v4
	v_lshlrev_b32_e32 v6, 16, v8
	v_pk_mul_f32 v[2:3], v[2:3], v[6:7] op_sel_hi:[0,1]
	v_and_b32_e32 v3, 0x7f800000, v2
	v_cmp_ne_u32_e32 vcc, s72, v3
                                        ; implicit-def: $vgpr11
	s_and_saveexec_b64 s[54:55], vcc
	s_xor_b64 vcc, exec, s[54:55]
; %bb.305:                              ;   in Loop: Header=BB12_124 Depth=2
	v_bfe_u32 v3, v2, 16, 1
	v_add3_u32 v11, v2, v3, s73
                                        ; implicit-def: $vgpr2_vgpr3
; %bb.306:                              ;   in Loop: Header=BB12_124 Depth=2
	s_andn2_saveexec_b64 s[54:55], vcc
; %bb.307:                              ;   in Loop: Header=BB12_124 Depth=2
	v_or_b32_e32 v3, 0x10000, v2
	v_cmp_eq_u32_sdwa vcc, v2, v31 src0_sel:WORD_0 src1_sel:DWORD
	s_nop 1
	v_cndmask_b32_e32 v11, v3, v2, vcc
; %bb.308:                              ;   in Loop: Header=BB12_124 Depth=2
	s_or_b64 exec, exec, s[54:55]
	v_and_b32_e32 v2, 0xffff0000, v4
	v_and_b32_e32 v4, 0xffff0000, v8
	v_pk_mul_f32 v[2:3], v[2:3], v[4:5] op_sel_hi:[0,1]
	v_and_b32_e32 v3, 0x7f800000, v2
	v_cmp_ne_u32_e32 vcc, s72, v3
                                        ; implicit-def: $vgpr8
	s_and_saveexec_b64 s[54:55], vcc
	s_xor_b64 vcc, exec, s[54:55]
; %bb.309:                              ;   in Loop: Header=BB12_124 Depth=2
	v_bfe_u32 v3, v2, 16, 1
	v_add3_u32 v8, v2, v3, s73
                                        ; implicit-def: $vgpr2_vgpr3
; %bb.310:                              ;   in Loop: Header=BB12_124 Depth=2
	s_andn2_saveexec_b64 s[54:55], vcc
; %bb.311:                              ;   in Loop: Header=BB12_124 Depth=2
	v_or_b32_e32 v3, 0x10000, v2
	v_cmp_eq_u32_sdwa vcc, v2, v31 src0_sel:WORD_0 src1_sel:DWORD
	s_nop 1
	v_cndmask_b32_e32 v8, v3, v2, vcc
; %bb.312:                              ;   in Loop: Header=BB12_124 Depth=2
	s_or_b64 exec, exec, s[54:55]
	v_mov_b32_e32 v3, v9
	v_lshlrev_b32_e32 v2, 16, v5
	v_lshlrev_b32_e32 v4, 16, v3
	v_pk_mul_f32 v[6:7], v[2:3], v[4:5] op_sel_hi:[0,1]
	v_and_b32_e32 v2, 0x7f800000, v6
	v_cmp_ne_u32_e32 vcc, s72, v2
                                        ; implicit-def: $vgpr9
	s_and_saveexec_b64 s[54:55], vcc
	s_xor_b64 vcc, exec, s[54:55]
; %bb.313:                              ;   in Loop: Header=BB12_124 Depth=2
	v_bfe_u32 v2, v6, 16, 1
	v_add3_u32 v9, v6, v2, s73
                                        ; implicit-def: $vgpr6_vgpr7
; %bb.314:                              ;   in Loop: Header=BB12_124 Depth=2
	s_andn2_saveexec_b64 s[54:55], vcc
; %bb.315:                              ;   in Loop: Header=BB12_124 Depth=2
	v_or_b32_e32 v2, 0x10000, v6
	v_cmp_eq_u32_sdwa vcc, v6, v31 src0_sel:WORD_0 src1_sel:DWORD
	s_nop 1
	v_cndmask_b32_e32 v9, v2, v6, vcc
; %bb.316:                              ;   in Loop: Header=BB12_124 Depth=2
	s_or_b64 exec, exec, s[54:55]
	v_and_b32_e32 v2, 0xffff0000, v5
	v_and_b32_e32 v4, 0xffff0000, v3
	v_pk_mul_f32 v[2:3], v[2:3], v[4:5] op_sel_hi:[0,1]
	v_and_b32_e32 v3, 0x7f800000, v2
	v_cmp_ne_u32_e32 vcc, s72, v3
                                        ; implicit-def: $vgpr6
	s_and_saveexec_b64 s[54:55], vcc
	s_xor_b64 vcc, exec, s[54:55]
; %bb.317:                              ;   in Loop: Header=BB12_124 Depth=2
	v_bfe_u32 v3, v2, 16, 1
	v_add3_u32 v6, v2, v3, s73
                                        ; implicit-def: $vgpr2_vgpr3
; %bb.318:                              ;   in Loop: Header=BB12_124 Depth=2
	s_andn2_saveexec_b64 s[54:55], vcc
; %bb.319:                              ;   in Loop: Header=BB12_124 Depth=2
	v_or_b32_e32 v3, 0x10000, v2
	v_cmp_eq_u32_sdwa vcc, v2, v31 src0_sel:WORD_0 src1_sel:DWORD
	s_nop 1
	v_cndmask_b32_e32 v6, v3, v2, vcc
; %bb.320:                              ;   in Loop: Header=BB12_124 Depth=2
	s_or_b64 exec, exec, s[54:55]
	s_waitcnt vmcnt(1)
	v_lshlrev_b32_e32 v2, 16, v40
	v_lshlrev_b32_e32 v4, 16, v44
	v_pk_mul_f32 v[2:3], v[2:3], v[4:5] op_sel_hi:[0,1]
	v_and_b32_e32 v3, 0x7f800000, v2
	v_cmp_ne_u32_e32 vcc, s72, v3
                                        ; implicit-def: $vgpr7
	s_and_saveexec_b64 s[54:55], vcc
	s_xor_b64 vcc, exec, s[54:55]
; %bb.321:                              ;   in Loop: Header=BB12_124 Depth=2
	v_bfe_u32 v3, v2, 16, 1
	v_add3_u32 v7, v2, v3, s73
                                        ; implicit-def: $vgpr2_vgpr3
; %bb.322:                              ;   in Loop: Header=BB12_124 Depth=2
	s_andn2_saveexec_b64 s[54:55], vcc
; %bb.323:                              ;   in Loop: Header=BB12_124 Depth=2
	v_or_b32_e32 v3, 0x10000, v2
	v_cmp_eq_u32_sdwa vcc, v2, v31 src0_sel:WORD_0 src1_sel:DWORD
	s_nop 1
	v_cndmask_b32_e32 v7, v3, v2, vcc
; %bb.324:                              ;   in Loop: Header=BB12_124 Depth=2
	s_or_b64 exec, exec, s[54:55]
	v_and_b32_e32 v2, 0xffff0000, v40
	v_and_b32_e32 v4, 0xffff0000, v44
	v_pk_mul_f32 v[2:3], v[2:3], v[4:5] op_sel_hi:[0,1]
	v_and_b32_e32 v3, 0x7f800000, v2
	v_cmp_ne_u32_e32 vcc, s72, v3
                                        ; implicit-def: $vgpr35
	s_and_saveexec_b64 s[54:55], vcc
	s_xor_b64 vcc, exec, s[54:55]
; %bb.325:                              ;   in Loop: Header=BB12_124 Depth=2
	v_bfe_u32 v3, v2, 16, 1
	v_add3_u32 v35, v2, v3, s73
                                        ; implicit-def: $vgpr2_vgpr3
; %bb.326:                              ;   in Loop: Header=BB12_124 Depth=2
	s_andn2_saveexec_b64 s[54:55], vcc
; %bb.327:                              ;   in Loop: Header=BB12_124 Depth=2
	v_or_b32_e32 v3, 0x10000, v2
	v_cmp_eq_u32_sdwa vcc, v2, v31 src0_sel:WORD_0 src1_sel:DWORD
	s_nop 1
	v_cndmask_b32_e32 v35, v3, v2, vcc
; %bb.328:                              ;   in Loop: Header=BB12_124 Depth=2
	s_or_b64 exec, exec, s[54:55]
	v_mov_b32_e32 v3, v41
	v_lshlrev_b32_e32 v2, 16, v3
	v_lshlrev_b32_e32 v4, 16, v45
	v_pk_mul_f32 v[4:5], v[2:3], v[4:5] op_sel_hi:[0,1]
	v_and_b32_e32 v2, 0x7f800000, v4
	v_cmp_ne_u32_e32 vcc, s72, v2
                                        ; implicit-def: $vgpr40
	s_and_saveexec_b64 s[54:55], vcc
	s_xor_b64 vcc, exec, s[54:55]
; %bb.329:                              ;   in Loop: Header=BB12_124 Depth=2
	v_bfe_u32 v2, v4, 16, 1
	v_add3_u32 v40, v4, v2, s73
                                        ; implicit-def: $vgpr4_vgpr5
; %bb.330:                              ;   in Loop: Header=BB12_124 Depth=2
	s_andn2_saveexec_b64 s[54:55], vcc
; %bb.331:                              ;   in Loop: Header=BB12_124 Depth=2
	v_or_b32_e32 v2, 0x10000, v4
	v_cmp_eq_u32_sdwa vcc, v4, v31 src0_sel:WORD_0 src1_sel:DWORD
	s_nop 1
	v_cndmask_b32_e32 v40, v2, v4, vcc
; %bb.332:                              ;   in Loop: Header=BB12_124 Depth=2
	s_or_b64 exec, exec, s[54:55]
	v_and_b32_e32 v2, 0xffff0000, v3
	v_and_b32_e32 v4, 0xffff0000, v45
	v_pk_mul_f32 v[2:3], v[2:3], v[4:5] op_sel_hi:[0,1]
	v_and_b32_e32 v3, 0x7f800000, v2
	v_cmp_ne_u32_e32 vcc, s72, v3
                                        ; implicit-def: $vgpr41
	s_and_saveexec_b64 s[54:55], vcc
	s_xor_b64 vcc, exec, s[54:55]
; %bb.333:                              ;   in Loop: Header=BB12_124 Depth=2
	v_bfe_u32 v3, v2, 16, 1
	v_add3_u32 v41, v2, v3, s73
                                        ; implicit-def: $vgpr2_vgpr3
; %bb.334:                              ;   in Loop: Header=BB12_124 Depth=2
	s_andn2_saveexec_b64 s[54:55], vcc
; %bb.335:                              ;   in Loop: Header=BB12_124 Depth=2
	v_or_b32_e32 v3, 0x10000, v2
	v_cmp_eq_u32_sdwa vcc, v2, v31 src0_sel:WORD_0 src1_sel:DWORD
	s_nop 1
	v_cndmask_b32_e32 v41, v3, v2, vcc
; %bb.336:                              ;   in Loop: Header=BB12_124 Depth=2
	s_or_b64 exec, exec, s[54:55]
	v_lshlrev_b32_e32 v2, 16, v42
	v_lshlrev_b32_e32 v4, 16, v46
	v_pk_mul_f32 v[2:3], v[2:3], v[4:5] op_sel_hi:[0,1]
	v_and_b32_e32 v3, 0x7f800000, v2
	v_cmp_ne_u32_e32 vcc, s72, v3
                                        ; implicit-def: $vgpr44
	s_and_saveexec_b64 s[54:55], vcc
	s_xor_b64 vcc, exec, s[54:55]
; %bb.337:                              ;   in Loop: Header=BB12_124 Depth=2
	v_bfe_u32 v3, v2, 16, 1
	v_add3_u32 v44, v2, v3, s73
                                        ; implicit-def: $vgpr2_vgpr3
; %bb.338:                              ;   in Loop: Header=BB12_124 Depth=2
	s_andn2_saveexec_b64 s[54:55], vcc
; %bb.339:                              ;   in Loop: Header=BB12_124 Depth=2
	v_or_b32_e32 v3, 0x10000, v2
	v_cmp_eq_u32_sdwa vcc, v2, v31 src0_sel:WORD_0 src1_sel:DWORD
	s_nop 1
	v_cndmask_b32_e32 v44, v3, v2, vcc
; %bb.340:                              ;   in Loop: Header=BB12_124 Depth=2
	s_or_b64 exec, exec, s[54:55]
	v_and_b32_e32 v2, 0xffff0000, v42
	v_and_b32_e32 v4, 0xffff0000, v46
	v_pk_mul_f32 v[2:3], v[2:3], v[4:5] op_sel_hi:[0,1]
	v_and_b32_e32 v3, 0x7f800000, v2
	v_cmp_ne_u32_e32 vcc, s72, v3
                                        ; implicit-def: $vgpr42
	s_and_saveexec_b64 s[54:55], vcc
	s_xor_b64 vcc, exec, s[54:55]
; %bb.341:                              ;   in Loop: Header=BB12_124 Depth=2
	v_bfe_u32 v3, v2, 16, 1
	v_add3_u32 v42, v2, v3, s73
                                        ; implicit-def: $vgpr2_vgpr3
; %bb.342:                              ;   in Loop: Header=BB12_124 Depth=2
	s_andn2_saveexec_b64 s[54:55], vcc
; %bb.343:                              ;   in Loop: Header=BB12_124 Depth=2
	v_or_b32_e32 v3, 0x10000, v2
	v_cmp_eq_u32_sdwa vcc, v2, v31 src0_sel:WORD_0 src1_sel:DWORD
	s_nop 1
	v_cndmask_b32_e32 v42, v3, v2, vcc
; %bb.344:                              ;   in Loop: Header=BB12_124 Depth=2
	s_or_b64 exec, exec, s[54:55]
	v_mov_b32_e32 v3, v47
	v_lshlrev_b32_e32 v2, 16, v43
	v_lshlrev_b32_e32 v4, 16, v3
	v_pk_mul_f32 v[4:5], v[2:3], v[4:5] op_sel_hi:[0,1]
	v_and_b32_e32 v2, 0x7f800000, v4
	v_cmp_ne_u32_e32 vcc, s72, v2
                                        ; implicit-def: $vgpr45
	s_and_saveexec_b64 s[54:55], vcc
	s_xor_b64 vcc, exec, s[54:55]
; %bb.345:                              ;   in Loop: Header=BB12_124 Depth=2
	v_bfe_u32 v2, v4, 16, 1
	v_add3_u32 v45, v4, v2, s73
                                        ; implicit-def: $vgpr4_vgpr5
; %bb.346:                              ;   in Loop: Header=BB12_124 Depth=2
	s_andn2_saveexec_b64 s[54:55], vcc
; %bb.347:                              ;   in Loop: Header=BB12_124 Depth=2
	v_or_b32_e32 v2, 0x10000, v4
	v_cmp_eq_u32_sdwa vcc, v4, v31 src0_sel:WORD_0 src1_sel:DWORD
	s_nop 1
	v_cndmask_b32_e32 v45, v2, v4, vcc
; %bb.348:                              ;   in Loop: Header=BB12_124 Depth=2
	s_or_b64 exec, exec, s[54:55]
	v_and_b32_e32 v2, 0xffff0000, v43
	v_and_b32_e32 v4, 0xffff0000, v3
	v_pk_mul_f32 v[2:3], v[2:3], v[4:5] op_sel_hi:[0,1]
	v_and_b32_e32 v3, 0x7f800000, v2
	v_cmp_ne_u32_e32 vcc, s72, v3
                                        ; implicit-def: $vgpr43
	s_and_saveexec_b64 s[54:55], vcc
	s_xor_b64 vcc, exec, s[54:55]
; %bb.349:                              ;   in Loop: Header=BB12_124 Depth=2
	v_bfe_u32 v3, v2, 16, 1
	v_add3_u32 v43, v2, v3, s73
                                        ; implicit-def: $vgpr2_vgpr3
; %bb.350:                              ;   in Loop: Header=BB12_124 Depth=2
	s_andn2_saveexec_b64 s[54:55], vcc
; %bb.351:                              ;   in Loop: Header=BB12_124 Depth=2
	v_or_b32_e32 v3, 0x10000, v2
	v_cmp_eq_u32_sdwa vcc, v2, v31 src0_sel:WORD_0 src1_sel:DWORD
	s_nop 1
	v_cndmask_b32_e32 v43, v3, v2, vcc
; %bb.352:                              ;   in Loop: Header=BB12_124 Depth=2
	s_or_b64 exec, exec, s[54:55]
	s_waitcnt vmcnt(0)
	v_lshlrev_b32_e32 v2, 16, v48
	v_lshlrev_b32_e32 v4, 16, v52
	v_pk_mul_f32 v[2:3], v[2:3], v[4:5] op_sel_hi:[0,1]
	v_and_b32_e32 v3, 0x7f800000, v2
	v_cmp_ne_u32_e32 vcc, s72, v3
                                        ; implicit-def: $vgpr46
	s_and_saveexec_b64 s[54:55], vcc
	s_xor_b64 vcc, exec, s[54:55]
; %bb.353:                              ;   in Loop: Header=BB12_124 Depth=2
	v_bfe_u32 v3, v2, 16, 1
	v_add3_u32 v46, v2, v3, s73
                                        ; implicit-def: $vgpr2_vgpr3
; %bb.354:                              ;   in Loop: Header=BB12_124 Depth=2
	s_andn2_saveexec_b64 s[54:55], vcc
; %bb.355:                              ;   in Loop: Header=BB12_124 Depth=2
	v_or_b32_e32 v3, 0x10000, v2
	v_cmp_eq_u32_sdwa vcc, v2, v31 src0_sel:WORD_0 src1_sel:DWORD
	s_nop 1
	v_cndmask_b32_e32 v46, v3, v2, vcc
; %bb.356:                              ;   in Loop: Header=BB12_124 Depth=2
	s_or_b64 exec, exec, s[54:55]
	v_and_b32_e32 v2, 0xffff0000, v48
	v_and_b32_e32 v4, 0xffff0000, v52
	v_pk_mul_f32 v[2:3], v[2:3], v[4:5] op_sel_hi:[0,1]
	v_and_b32_e32 v3, 0x7f800000, v2
	v_cmp_ne_u32_e32 vcc, s72, v3
                                        ; implicit-def: $vgpr48
	s_and_saveexec_b64 s[54:55], vcc
	s_xor_b64 vcc, exec, s[54:55]
; %bb.357:                              ;   in Loop: Header=BB12_124 Depth=2
	v_bfe_u32 v3, v2, 16, 1
	v_add3_u32 v48, v2, v3, s73
                                        ; implicit-def: $vgpr2_vgpr3
; %bb.358:                              ;   in Loop: Header=BB12_124 Depth=2
	s_andn2_saveexec_b64 s[54:55], vcc
; %bb.359:                              ;   in Loop: Header=BB12_124 Depth=2
	v_or_b32_e32 v3, 0x10000, v2
	v_cmp_eq_u32_sdwa vcc, v2, v31 src0_sel:WORD_0 src1_sel:DWORD
	s_nop 1
	v_cndmask_b32_e32 v48, v3, v2, vcc
; %bb.360:                              ;   in Loop: Header=BB12_124 Depth=2
	s_or_b64 exec, exec, s[54:55]
	v_mov_b32_e32 v3, v49
	v_lshlrev_b32_e32 v2, 16, v3
	v_lshlrev_b32_e32 v4, 16, v53
	v_pk_mul_f32 v[4:5], v[2:3], v[4:5] op_sel_hi:[0,1]
	v_and_b32_e32 v2, 0x7f800000, v4
	v_cmp_ne_u32_e32 vcc, s72, v2
                                        ; implicit-def: $vgpr49
	s_and_saveexec_b64 s[54:55], vcc
	s_xor_b64 vcc, exec, s[54:55]
; %bb.361:                              ;   in Loop: Header=BB12_124 Depth=2
	v_bfe_u32 v2, v4, 16, 1
	v_add3_u32 v49, v4, v2, s73
                                        ; implicit-def: $vgpr4_vgpr5
; %bb.362:                              ;   in Loop: Header=BB12_124 Depth=2
	s_andn2_saveexec_b64 s[54:55], vcc
; %bb.363:                              ;   in Loop: Header=BB12_124 Depth=2
	v_or_b32_e32 v2, 0x10000, v4
	v_cmp_eq_u32_sdwa vcc, v4, v31 src0_sel:WORD_0 src1_sel:DWORD
	s_nop 1
	v_cndmask_b32_e32 v49, v2, v4, vcc
; %bb.364:                              ;   in Loop: Header=BB12_124 Depth=2
	s_or_b64 exec, exec, s[54:55]
	v_and_b32_e32 v2, 0xffff0000, v3
	v_and_b32_e32 v4, 0xffff0000, v53
	v_pk_mul_f32 v[2:3], v[2:3], v[4:5] op_sel_hi:[0,1]
	v_and_b32_e32 v3, 0x7f800000, v2
	v_cmp_ne_u32_e32 vcc, s72, v3
                                        ; implicit-def: $vgpr52
	s_and_saveexec_b64 s[54:55], vcc
	s_xor_b64 vcc, exec, s[54:55]
; %bb.365:                              ;   in Loop: Header=BB12_124 Depth=2
	v_bfe_u32 v3, v2, 16, 1
	v_add3_u32 v52, v2, v3, s73
                                        ; implicit-def: $vgpr2_vgpr3
; %bb.366:                              ;   in Loop: Header=BB12_124 Depth=2
	s_andn2_saveexec_b64 s[54:55], vcc
; %bb.367:                              ;   in Loop: Header=BB12_124 Depth=2
	v_or_b32_e32 v3, 0x10000, v2
	v_cmp_eq_u32_sdwa vcc, v2, v31 src0_sel:WORD_0 src1_sel:DWORD
	s_nop 1
	v_cndmask_b32_e32 v52, v3, v2, vcc
; %bb.368:                              ;   in Loop: Header=BB12_124 Depth=2
	s_or_b64 exec, exec, s[54:55]
	v_lshlrev_b32_e32 v2, 16, v50
	v_lshlrev_b32_e32 v4, 16, v54
	v_pk_mul_f32 v[2:3], v[2:3], v[4:5] op_sel_hi:[0,1]
	v_and_b32_e32 v3, 0x7f800000, v2
	v_cmp_ne_u32_e32 vcc, s72, v3
                                        ; implicit-def: $vgpr53
	s_and_saveexec_b64 s[54:55], vcc
	s_xor_b64 vcc, exec, s[54:55]
; %bb.369:                              ;   in Loop: Header=BB12_124 Depth=2
	v_bfe_u32 v3, v2, 16, 1
	v_add3_u32 v53, v2, v3, s73
                                        ; implicit-def: $vgpr2_vgpr3
; %bb.370:                              ;   in Loop: Header=BB12_124 Depth=2
	s_andn2_saveexec_b64 s[54:55], vcc
; %bb.371:                              ;   in Loop: Header=BB12_124 Depth=2
	v_or_b32_e32 v3, 0x10000, v2
	v_cmp_eq_u32_sdwa vcc, v2, v31 src0_sel:WORD_0 src1_sel:DWORD
	s_nop 1
	v_cndmask_b32_e32 v53, v3, v2, vcc
; %bb.372:                              ;   in Loop: Header=BB12_124 Depth=2
	s_or_b64 exec, exec, s[54:55]
	v_and_b32_e32 v2, 0xffff0000, v50
	v_and_b32_e32 v4, 0xffff0000, v54
	v_pk_mul_f32 v[2:3], v[2:3], v[4:5] op_sel_hi:[0,1]
	v_and_b32_e32 v3, 0x7f800000, v2
	v_cmp_ne_u32_e32 vcc, s72, v3
                                        ; implicit-def: $vgpr50
	s_and_saveexec_b64 s[54:55], vcc
	s_xor_b64 vcc, exec, s[54:55]
; %bb.373:                              ;   in Loop: Header=BB12_124 Depth=2
	v_bfe_u32 v3, v2, 16, 1
	v_add3_u32 v50, v2, v3, s73
                                        ; implicit-def: $vgpr2_vgpr3
; %bb.374:                              ;   in Loop: Header=BB12_124 Depth=2
	s_andn2_saveexec_b64 s[54:55], vcc
; %bb.375:                              ;   in Loop: Header=BB12_124 Depth=2
	v_or_b32_e32 v3, 0x10000, v2
	v_cmp_eq_u32_sdwa vcc, v2, v31 src0_sel:WORD_0 src1_sel:DWORD
	s_nop 1
	v_cndmask_b32_e32 v50, v3, v2, vcc
; %bb.376:                              ;   in Loop: Header=BB12_124 Depth=2
	s_or_b64 exec, exec, s[54:55]
	v_mov_b32_e32 v3, v55
	v_lshlrev_b32_e32 v2, 16, v51
	v_lshlrev_b32_e32 v4, 16, v3
	v_pk_mul_f32 v[4:5], v[2:3], v[4:5] op_sel_hi:[0,1]
	v_and_b32_e32 v2, 0x7f800000, v4
	v_cmp_ne_u32_e32 vcc, s72, v2
                                        ; implicit-def: $vgpr54
	s_and_saveexec_b64 s[54:55], vcc
	s_xor_b64 vcc, exec, s[54:55]
; %bb.377:                              ;   in Loop: Header=BB12_124 Depth=2
	v_bfe_u32 v2, v4, 16, 1
	v_add3_u32 v54, v4, v2, s73
                                        ; implicit-def: $vgpr4_vgpr5
; %bb.378:                              ;   in Loop: Header=BB12_124 Depth=2
	s_andn2_saveexec_b64 s[54:55], vcc
; %bb.379:                              ;   in Loop: Header=BB12_124 Depth=2
	v_or_b32_e32 v2, 0x10000, v4
	v_cmp_eq_u32_sdwa vcc, v4, v31 src0_sel:WORD_0 src1_sel:DWORD
	s_nop 1
	v_cndmask_b32_e32 v54, v2, v4, vcc
; %bb.380:                              ;   in Loop: Header=BB12_124 Depth=2
	s_or_b64 exec, exec, s[54:55]
	v_and_b32_e32 v2, 0xffff0000, v51
	v_and_b32_e32 v4, 0xffff0000, v3
	v_pk_mul_f32 v[2:3], v[2:3], v[4:5] op_sel_hi:[0,1]
	v_and_b32_e32 v3, 0x7f800000, v2
	v_cmp_ne_u32_e32 vcc, s72, v3
                                        ; implicit-def: $vgpr4
	s_and_saveexec_b64 s[54:55], vcc
	s_xor_b64 vcc, exec, s[54:55]
; %bb.381:                              ;   in Loop: Header=BB12_124 Depth=2
	v_bfe_u32 v3, v2, 16, 1
	v_add3_u32 v4, v2, v3, s73
                                        ; implicit-def: $vgpr2_vgpr3
; %bb.382:                              ;   in Loop: Header=BB12_124 Depth=2
	s_andn2_saveexec_b64 s[54:55], vcc
	s_cbranch_execz .LBB12_123
; %bb.383:                              ;   in Loop: Header=BB12_124 Depth=2
	v_or_b32_e32 v3, 0x10000, v2
	v_cmp_eq_u32_sdwa vcc, v2, v31 src0_sel:WORD_0 src1_sel:DWORD
	s_nop 1
	v_cndmask_b32_e32 v4, v3, v2, vcc
	s_branch .LBB12_123
.LBB12_384:                             ;   in Loop: Header=BB12_49 Depth=1
	s_or_b64 exec, exec, s[20:21]
	scratch_load_dword v48, off, s33 offset:384 ; 4-byte Folded Reload
	scratch_load_dword v49, off, s33 offset:400 ; 4-byte Folded Reload
	;; [unrolled: 1-line block ×7, first 2 shown]
	s_and_b64 s[20:21], s[22:23], exec
	v_mov_b32_e32 v55, 1
	v_mov_b32_e32 v40, 0x80
.LBB12_385:                             ;   in Loop: Header=BB12_49 Depth=1
	s_or_b64 exec, exec, s[18:19]
	s_and_saveexec_b64 s[18:19], s[20:21]
	s_cbranch_execz .LBB12_515
; %bb.386:                              ;   in Loop: Header=BB12_49 Depth=1
	v_accvgpr_read_b32 v4, a58
	v_lshlrev_b32_e32 v2, 16, v56
	v_accvgpr_read_b32 v5, a59
	v_lshlrev_b32_e32 v4, 16, v4
	v_pk_mul_f32 v[2:3], v[2:3], v[4:5] op_sel_hi:[0,1]
	v_and_b32_e32 v3, 0x7f800000, v2
	v_cmp_ne_u32_e32 vcc, s72, v3
	v_accvgpr_read_b32 v6, a60
	v_accvgpr_read_b32 v7, a61
                                        ; implicit-def: $vgpr4
	s_and_saveexec_b64 s[20:21], vcc
	s_xor_b64 s[20:21], exec, s[20:21]
; %bb.387:                              ;   in Loop: Header=BB12_49 Depth=1
	v_bfe_u32 v3, v2, 16, 1
	v_add3_u32 v4, v2, v3, s73
                                        ; implicit-def: $vgpr2_vgpr3
; %bb.388:                              ;   in Loop: Header=BB12_49 Depth=1
	s_andn2_saveexec_b64 s[20:21], s[20:21]
; %bb.389:                              ;   in Loop: Header=BB12_49 Depth=1
	v_or_b32_e32 v3, 0x10000, v2
	v_cmp_eq_u32_sdwa vcc, v2, v31 src0_sel:WORD_0 src1_sel:DWORD
	s_nop 1
	v_cndmask_b32_e32 v4, v3, v2, vcc
; %bb.390:                              ;   in Loop: Header=BB12_49 Depth=1
	s_or_b64 exec, exec, s[20:21]
	v_accvgpr_read_b32 v6, a58
	v_mov_b32_e32 v2, v6
	v_mov_b32_e32 v3, v56
	v_accvgpr_read_b32 v7, a59
	v_and_b32_e32 v6, 0xffff0000, v3
	v_and_b32_e32 v2, 0xffff0000, v2
	v_pk_mul_f32 v[2:3], v[6:7], v[2:3] op_sel_hi:[0,1]
	v_and_b32_e32 v3, 0x7f800000, v2
	v_cmp_ne_u32_e32 vcc, s72, v3
	v_accvgpr_read_b32 v8, a60
	v_accvgpr_read_b32 v9, a61
                                        ; implicit-def: $vgpr5
	s_and_saveexec_b64 s[20:21], vcc
	s_xor_b64 s[20:21], exec, s[20:21]
; %bb.391:                              ;   in Loop: Header=BB12_49 Depth=1
	v_bfe_u32 v3, v2, 16, 1
	v_add3_u32 v5, v2, v3, s73
                                        ; implicit-def: $vgpr2_vgpr3
; %bb.392:                              ;   in Loop: Header=BB12_49 Depth=1
	s_andn2_saveexec_b64 s[20:21], s[20:21]
; %bb.393:                              ;   in Loop: Header=BB12_49 Depth=1
	v_or_b32_e32 v3, 0x10000, v2
	v_cmp_eq_u32_sdwa vcc, v2, v31 src0_sel:WORD_0 src1_sel:DWORD
	s_nop 1
	v_cndmask_b32_e32 v5, v3, v2, vcc
; %bb.394:                              ;   in Loop: Header=BB12_49 Depth=1
	s_or_b64 exec, exec, s[20:21]
	v_accvgpr_read_b32 v7, a59
	v_lshlrev_b32_e32 v2, 16, v57
	v_lshlrev_b32_e32 v6, 16, v7
	v_pk_mul_f32 v[2:3], v[2:3], v[6:7] op_sel_hi:[0,1]
	v_and_b32_e32 v3, 0x7f800000, v2
	v_cmp_ne_u32_e32 vcc, s72, v3
	v_accvgpr_read_b32 v8, a60
	v_accvgpr_read_b32 v9, a61
                                        ; implicit-def: $vgpr6
	s_and_saveexec_b64 s[20:21], vcc
	s_xor_b64 s[20:21], exec, s[20:21]
; %bb.395:                              ;   in Loop: Header=BB12_49 Depth=1
	v_bfe_u32 v3, v2, 16, 1
	v_add3_u32 v6, v2, v3, s73
                                        ; implicit-def: $vgpr2_vgpr3
; %bb.396:                              ;   in Loop: Header=BB12_49 Depth=1
	s_andn2_saveexec_b64 s[20:21], s[20:21]
; %bb.397:                              ;   in Loop: Header=BB12_49 Depth=1
	v_or_b32_e32 v3, 0x10000, v2
	v_cmp_eq_u32_sdwa vcc, v2, v31 src0_sel:WORD_0 src1_sel:DWORD
	s_nop 1
	v_cndmask_b32_e32 v6, v3, v2, vcc
; %bb.398:                              ;   in Loop: Header=BB12_49 Depth=1
	s_or_b64 exec, exec, s[20:21]
	v_accvgpr_read_b32 v7, a59
	v_accvgpr_read_b32 v8, a60
	v_mov_b32_e32 v2, v7
	v_accvgpr_read_b32 v9, a61
	v_and_b32_e32 v8, 0xffff0000, v57
	v_and_b32_e32 v2, 0xffff0000, v2
	v_pk_mul_f32 v[2:3], v[8:9], v[2:3] op_sel_hi:[0,1]
	v_and_b32_e32 v3, 0x7f800000, v2
	v_cmp_ne_u32_e32 vcc, s72, v3
                                        ; implicit-def: $vgpr7
	s_and_saveexec_b64 s[20:21], vcc
	s_xor_b64 s[20:21], exec, s[20:21]
; %bb.399:                              ;   in Loop: Header=BB12_49 Depth=1
	v_bfe_u32 v3, v2, 16, 1
	v_add3_u32 v7, v2, v3, s73
                                        ; implicit-def: $vgpr2_vgpr3
; %bb.400:                              ;   in Loop: Header=BB12_49 Depth=1
	s_andn2_saveexec_b64 s[20:21], s[20:21]
; %bb.401:                              ;   in Loop: Header=BB12_49 Depth=1
	v_or_b32_e32 v3, 0x10000, v2
	v_cmp_eq_u32_sdwa vcc, v2, v31 src0_sel:WORD_0 src1_sel:DWORD
	s_nop 1
	v_cndmask_b32_e32 v7, v3, v2, vcc
; %bb.402:                              ;   in Loop: Header=BB12_49 Depth=1
	s_or_b64 exec, exec, s[20:21]
	v_accvgpr_read_b32 v8, a60
	v_lshlrev_b32_e32 v2, 16, v58
	v_accvgpr_read_b32 v9, a61
	v_lshlrev_b32_e32 v8, 16, v8
	v_pk_mul_f32 v[2:3], v[2:3], v[8:9] op_sel_hi:[0,1]
	v_and_b32_e32 v3, 0x7f800000, v2
	v_cmp_ne_u32_e32 vcc, s72, v3
                                        ; implicit-def: $vgpr8
	s_and_saveexec_b64 s[20:21], vcc
	s_xor_b64 s[20:21], exec, s[20:21]
; %bb.403:                              ;   in Loop: Header=BB12_49 Depth=1
	v_bfe_u32 v3, v2, 16, 1
	v_add3_u32 v8, v2, v3, s73
                                        ; implicit-def: $vgpr2_vgpr3
; %bb.404:                              ;   in Loop: Header=BB12_49 Depth=1
	s_andn2_saveexec_b64 s[20:21], s[20:21]
; %bb.405:                              ;   in Loop: Header=BB12_49 Depth=1
	v_or_b32_e32 v3, 0x10000, v2
	v_cmp_eq_u32_sdwa vcc, v2, v31 src0_sel:WORD_0 src1_sel:DWORD
	s_nop 1
	v_cndmask_b32_e32 v8, v3, v2, vcc
; %bb.406:                              ;   in Loop: Header=BB12_49 Depth=1
	s_or_b64 exec, exec, s[20:21]
	v_accvgpr_read_b32 v2, a60
	v_accvgpr_read_b32 v3, a61
	v_mov_b32_e32 v3, v58
	v_and_b32_e32 v10, 0xffff0000, v3
	v_and_b32_e32 v2, 0xffff0000, v2
	v_pk_mul_f32 v[2:3], v[10:11], v[2:3] op_sel_hi:[0,1]
	v_and_b32_e32 v3, 0x7f800000, v2
	v_cmp_ne_u32_e32 vcc, s72, v3
                                        ; implicit-def: $vgpr9
	s_and_saveexec_b64 s[20:21], vcc
	s_xor_b64 s[20:21], exec, s[20:21]
; %bb.407:                              ;   in Loop: Header=BB12_49 Depth=1
	v_bfe_u32 v3, v2, 16, 1
	v_add3_u32 v9, v2, v3, s73
                                        ; implicit-def: $vgpr2_vgpr3
; %bb.408:                              ;   in Loop: Header=BB12_49 Depth=1
	s_andn2_saveexec_b64 s[20:21], s[20:21]
; %bb.409:                              ;   in Loop: Header=BB12_49 Depth=1
	v_or_b32_e32 v3, 0x10000, v2
	v_cmp_eq_u32_sdwa vcc, v2, v31 src0_sel:WORD_0 src1_sel:DWORD
	s_nop 1
	v_cndmask_b32_e32 v9, v3, v2, vcc
; %bb.410:                              ;   in Loop: Header=BB12_49 Depth=1
	s_or_b64 exec, exec, s[20:21]
	v_accvgpr_read_b32 v3, a61
	v_lshlrev_b32_e32 v2, 16, v59
	v_lshlrev_b32_e32 v10, 16, v3
	v_pk_mul_f32 v[2:3], v[2:3], v[10:11] op_sel_hi:[0,1]
	v_and_b32_e32 v3, 0x7f800000, v2
	v_cmp_ne_u32_e32 vcc, s72, v3
                                        ; implicit-def: $vgpr10
	s_and_saveexec_b64 s[20:21], vcc
	s_xor_b64 s[20:21], exec, s[20:21]
; %bb.411:                              ;   in Loop: Header=BB12_49 Depth=1
	v_bfe_u32 v3, v2, 16, 1
	v_add3_u32 v10, v2, v3, s73
                                        ; implicit-def: $vgpr2_vgpr3
; %bb.412:                              ;   in Loop: Header=BB12_49 Depth=1
	s_andn2_saveexec_b64 s[20:21], s[20:21]
; %bb.413:                              ;   in Loop: Header=BB12_49 Depth=1
	v_or_b32_e32 v3, 0x10000, v2
	v_cmp_eq_u32_sdwa vcc, v2, v31 src0_sel:WORD_0 src1_sel:DWORD
	s_nop 1
	v_cndmask_b32_e32 v10, v3, v2, vcc
; %bb.414:                              ;   in Loop: Header=BB12_49 Depth=1
	s_or_b64 exec, exec, s[20:21]
	v_accvgpr_read_b32 v2, a61
	v_and_b32_e32 v12, 0xffff0000, v59
	v_and_b32_e32 v2, 0xffff0000, v2
	v_pk_mul_f32 v[2:3], v[12:13], v[2:3] op_sel_hi:[0,1]
	v_and_b32_e32 v3, 0x7f800000, v2
	v_cmp_ne_u32_e32 vcc, s72, v3
                                        ; implicit-def: $vgpr11
	s_and_saveexec_b64 s[20:21], vcc
	s_xor_b64 s[20:21], exec, s[20:21]
; %bb.415:                              ;   in Loop: Header=BB12_49 Depth=1
	v_bfe_u32 v3, v2, 16, 1
	v_add3_u32 v11, v2, v3, s73
                                        ; implicit-def: $vgpr2_vgpr3
; %bb.416:                              ;   in Loop: Header=BB12_49 Depth=1
	s_andn2_saveexec_b64 s[20:21], s[20:21]
; %bb.417:                              ;   in Loop: Header=BB12_49 Depth=1
	v_or_b32_e32 v3, 0x10000, v2
	v_cmp_eq_u32_sdwa vcc, v2, v31 src0_sel:WORD_0 src1_sel:DWORD
	s_nop 1
	v_cndmask_b32_e32 v11, v3, v2, vcc
; %bb.418:                              ;   in Loop: Header=BB12_49 Depth=1
	s_or_b64 exec, exec, s[20:21]
	v_accvgpr_read_b32 v18, a20
	v_lshlrev_b32_e32 v2, 16, v36
	v_lshlrev_b32_e32 v12, 16, v18
	v_pk_mul_f32 v[2:3], v[2:3], v[12:13] op_sel_hi:[0,1]
	v_and_b32_e32 v3, 0x7f800000, v2
	v_cmp_ne_u32_e32 vcc, s72, v3
	v_accvgpr_read_b32 v19, a21
	v_accvgpr_read_b32 v20, a22
	;; [unrolled: 1-line block ×3, first 2 shown]
                                        ; implicit-def: $vgpr12
	s_and_saveexec_b64 s[20:21], vcc
	s_xor_b64 s[20:21], exec, s[20:21]
; %bb.419:                              ;   in Loop: Header=BB12_49 Depth=1
	v_bfe_u32 v3, v2, 16, 1
	v_add3_u32 v12, v2, v3, s73
                                        ; implicit-def: $vgpr2_vgpr3
; %bb.420:                              ;   in Loop: Header=BB12_49 Depth=1
	s_andn2_saveexec_b64 s[20:21], s[20:21]
; %bb.421:                              ;   in Loop: Header=BB12_49 Depth=1
	v_or_b32_e32 v3, 0x10000, v2
	v_cmp_eq_u32_sdwa vcc, v2, v31 src0_sel:WORD_0 src1_sel:DWORD
	s_nop 1
	v_cndmask_b32_e32 v12, v3, v2, vcc
; %bb.422:                              ;   in Loop: Header=BB12_49 Depth=1
	s_or_b64 exec, exec, s[20:21]
	v_accvgpr_read_b32 v18, a20
	v_mov_b32_e32 v2, v18
	v_mov_b32_e32 v3, v36
	v_accvgpr_read_b32 v19, a21
	v_and_b32_e32 v18, 0xffff0000, v3
	v_and_b32_e32 v2, 0xffff0000, v2
	v_pk_mul_f32 v[2:3], v[18:19], v[2:3] op_sel_hi:[0,1]
	v_and_b32_e32 v3, 0x7f800000, v2
	v_cmp_ne_u32_e32 vcc, s72, v3
	v_accvgpr_read_b32 v20, a22
	v_accvgpr_read_b32 v21, a23
                                        ; implicit-def: $vgpr13
	s_and_saveexec_b64 s[20:21], vcc
	s_xor_b64 s[20:21], exec, s[20:21]
; %bb.423:                              ;   in Loop: Header=BB12_49 Depth=1
	v_bfe_u32 v3, v2, 16, 1
	v_add3_u32 v13, v2, v3, s73
                                        ; implicit-def: $vgpr2_vgpr3
; %bb.424:                              ;   in Loop: Header=BB12_49 Depth=1
	s_andn2_saveexec_b64 s[20:21], s[20:21]
; %bb.425:                              ;   in Loop: Header=BB12_49 Depth=1
	v_or_b32_e32 v3, 0x10000, v2
	v_cmp_eq_u32_sdwa vcc, v2, v31 src0_sel:WORD_0 src1_sel:DWORD
	s_nop 1
	v_cndmask_b32_e32 v13, v3, v2, vcc
; %bb.426:                              ;   in Loop: Header=BB12_49 Depth=1
	s_or_b64 exec, exec, s[20:21]
	v_accvgpr_read_b32 v19, a21
	v_lshlrev_b32_e32 v2, 16, v37
	v_lshlrev_b32_e32 v18, 16, v19
	v_pk_mul_f32 v[2:3], v[2:3], v[18:19] op_sel_hi:[0,1]
	v_and_b32_e32 v3, 0x7f800000, v2
	v_cmp_ne_u32_e32 vcc, s72, v3
	v_accvgpr_read_b32 v20, a22
	v_accvgpr_read_b32 v21, a23
                                        ; implicit-def: $vgpr18
	s_and_saveexec_b64 s[20:21], vcc
	s_xor_b64 s[20:21], exec, s[20:21]
; %bb.427:                              ;   in Loop: Header=BB12_49 Depth=1
	v_bfe_u32 v3, v2, 16, 1
	v_add3_u32 v18, v2, v3, s73
                                        ; implicit-def: $vgpr2_vgpr3
; %bb.428:                              ;   in Loop: Header=BB12_49 Depth=1
	s_andn2_saveexec_b64 s[20:21], s[20:21]
; %bb.429:                              ;   in Loop: Header=BB12_49 Depth=1
	v_or_b32_e32 v3, 0x10000, v2
	v_cmp_eq_u32_sdwa vcc, v2, v31 src0_sel:WORD_0 src1_sel:DWORD
	s_nop 1
	v_cndmask_b32_e32 v18, v3, v2, vcc
; %bb.430:                              ;   in Loop: Header=BB12_49 Depth=1
	s_or_b64 exec, exec, s[20:21]
	v_accvgpr_read_b32 v19, a21
	v_accvgpr_read_b32 v20, a22
	v_mov_b32_e32 v2, v19
	v_accvgpr_read_b32 v21, a23
	v_and_b32_e32 v20, 0xffff0000, v37
	v_and_b32_e32 v2, 0xffff0000, v2
	v_pk_mul_f32 v[2:3], v[20:21], v[2:3] op_sel_hi:[0,1]
	v_and_b32_e32 v3, 0x7f800000, v2
	v_cmp_ne_u32_e32 vcc, s72, v3
                                        ; implicit-def: $vgpr19
	s_and_saveexec_b64 s[20:21], vcc
	s_xor_b64 s[20:21], exec, s[20:21]
; %bb.431:                              ;   in Loop: Header=BB12_49 Depth=1
	v_bfe_u32 v3, v2, 16, 1
	v_add3_u32 v19, v2, v3, s73
                                        ; implicit-def: $vgpr2_vgpr3
; %bb.432:                              ;   in Loop: Header=BB12_49 Depth=1
	s_andn2_saveexec_b64 s[20:21], s[20:21]
; %bb.433:                              ;   in Loop: Header=BB12_49 Depth=1
	v_or_b32_e32 v3, 0x10000, v2
	v_cmp_eq_u32_sdwa vcc, v2, v31 src0_sel:WORD_0 src1_sel:DWORD
	s_nop 1
	v_cndmask_b32_e32 v19, v3, v2, vcc
; %bb.434:                              ;   in Loop: Header=BB12_49 Depth=1
	s_or_b64 exec, exec, s[20:21]
	v_accvgpr_read_b32 v20, a22
	v_lshlrev_b32_e32 v2, 16, v38
	v_accvgpr_read_b32 v21, a23
	v_lshlrev_b32_e32 v20, 16, v20
	v_pk_mul_f32 v[2:3], v[2:3], v[20:21] op_sel_hi:[0,1]
	v_and_b32_e32 v3, 0x7f800000, v2
	v_cmp_ne_u32_e32 vcc, s72, v3
                                        ; implicit-def: $vgpr20
	s_and_saveexec_b64 s[20:21], vcc
	s_xor_b64 s[20:21], exec, s[20:21]
; %bb.435:                              ;   in Loop: Header=BB12_49 Depth=1
	v_bfe_u32 v3, v2, 16, 1
	v_add3_u32 v20, v2, v3, s73
                                        ; implicit-def: $vgpr2_vgpr3
; %bb.436:                              ;   in Loop: Header=BB12_49 Depth=1
	s_andn2_saveexec_b64 s[20:21], s[20:21]
; %bb.437:                              ;   in Loop: Header=BB12_49 Depth=1
	v_or_b32_e32 v3, 0x10000, v2
	v_cmp_eq_u32_sdwa vcc, v2, v31 src0_sel:WORD_0 src1_sel:DWORD
	s_nop 1
	v_cndmask_b32_e32 v20, v3, v2, vcc
; %bb.438:                              ;   in Loop: Header=BB12_49 Depth=1
	s_or_b64 exec, exec, s[20:21]
	v_accvgpr_read_b32 v2, a22
	v_accvgpr_read_b32 v3, a23
	v_mov_b32_e32 v3, v38
	v_and_b32_e32 v22, 0xffff0000, v3
	v_and_b32_e32 v2, 0xffff0000, v2
	v_pk_mul_f32 v[2:3], v[22:23], v[2:3] op_sel_hi:[0,1]
	v_and_b32_e32 v3, 0x7f800000, v2
	v_cmp_ne_u32_e32 vcc, s72, v3
                                        ; implicit-def: $vgpr21
	s_and_saveexec_b64 s[20:21], vcc
	s_xor_b64 s[20:21], exec, s[20:21]
; %bb.439:                              ;   in Loop: Header=BB12_49 Depth=1
	v_bfe_u32 v3, v2, 16, 1
	v_add3_u32 v21, v2, v3, s73
                                        ; implicit-def: $vgpr2_vgpr3
; %bb.440:                              ;   in Loop: Header=BB12_49 Depth=1
	s_andn2_saveexec_b64 s[20:21], s[20:21]
; %bb.441:                              ;   in Loop: Header=BB12_49 Depth=1
	v_or_b32_e32 v3, 0x10000, v2
	v_cmp_eq_u32_sdwa vcc, v2, v31 src0_sel:WORD_0 src1_sel:DWORD
	s_nop 1
	v_cndmask_b32_e32 v21, v3, v2, vcc
; %bb.442:                              ;   in Loop: Header=BB12_49 Depth=1
	s_or_b64 exec, exec, s[20:21]
	v_accvgpr_read_b32 v3, a23
	v_lshlrev_b32_e32 v2, 16, v39
	v_lshlrev_b32_e32 v22, 16, v3
	v_pk_mul_f32 v[2:3], v[2:3], v[22:23] op_sel_hi:[0,1]
	v_and_b32_e32 v3, 0x7f800000, v2
	v_cmp_ne_u32_e32 vcc, s72, v3
                                        ; implicit-def: $vgpr22
	s_and_saveexec_b64 s[20:21], vcc
	s_xor_b64 s[20:21], exec, s[20:21]
; %bb.443:                              ;   in Loop: Header=BB12_49 Depth=1
	v_bfe_u32 v3, v2, 16, 1
	v_add3_u32 v22, v2, v3, s73
                                        ; implicit-def: $vgpr2_vgpr3
; %bb.444:                              ;   in Loop: Header=BB12_49 Depth=1
	s_andn2_saveexec_b64 s[20:21], s[20:21]
; %bb.445:                              ;   in Loop: Header=BB12_49 Depth=1
	v_or_b32_e32 v3, 0x10000, v2
	v_cmp_eq_u32_sdwa vcc, v2, v31 src0_sel:WORD_0 src1_sel:DWORD
	s_nop 1
	v_cndmask_b32_e32 v22, v3, v2, vcc
; %bb.446:                              ;   in Loop: Header=BB12_49 Depth=1
	s_or_b64 exec, exec, s[20:21]
	v_accvgpr_read_b32 v2, a23
	v_and_b32_e32 v24, 0xffff0000, v39
	v_and_b32_e32 v2, 0xffff0000, v2
	v_pk_mul_f32 v[2:3], v[24:25], v[2:3] op_sel_hi:[0,1]
	v_and_b32_e32 v3, 0x7f800000, v2
	v_cmp_ne_u32_e32 vcc, s72, v3
                                        ; implicit-def: $vgpr23
	s_and_saveexec_b64 s[20:21], vcc
	s_xor_b64 s[20:21], exec, s[20:21]
; %bb.447:                              ;   in Loop: Header=BB12_49 Depth=1
	v_bfe_u32 v3, v2, 16, 1
	v_add3_u32 v23, v2, v3, s73
                                        ; implicit-def: $vgpr2_vgpr3
; %bb.448:                              ;   in Loop: Header=BB12_49 Depth=1
	s_andn2_saveexec_b64 s[20:21], s[20:21]
; %bb.449:                              ;   in Loop: Header=BB12_49 Depth=1
	v_or_b32_e32 v3, 0x10000, v2
	v_cmp_eq_u32_sdwa vcc, v2, v31 src0_sel:WORD_0 src1_sel:DWORD
	s_nop 1
	v_cndmask_b32_e32 v23, v3, v2, vcc
; %bb.450:                              ;   in Loop: Header=BB12_49 Depth=1
	s_or_b64 exec, exec, s[20:21]
	v_accvgpr_read_b32 v32, a52
	v_lshlrev_b32_e32 v2, 16, v26
	v_lshlrev_b32_e32 v24, 16, v32
	v_pk_mul_f32 v[2:3], v[2:3], v[24:25] op_sel_hi:[0,1]
	v_and_b32_e32 v3, 0x7f800000, v2
	v_cmp_ne_u32_e32 vcc, s72, v3
	v_accvgpr_read_b32 v33, a53
	v_accvgpr_read_b32 v34, a54
	;; [unrolled: 1-line block ×3, first 2 shown]
                                        ; implicit-def: $vgpr24
	s_and_saveexec_b64 s[20:21], vcc
	s_xor_b64 s[20:21], exec, s[20:21]
; %bb.451:                              ;   in Loop: Header=BB12_49 Depth=1
	v_bfe_u32 v3, v2, 16, 1
	v_add3_u32 v24, v2, v3, s73
                                        ; implicit-def: $vgpr2_vgpr3
; %bb.452:                              ;   in Loop: Header=BB12_49 Depth=1
	s_andn2_saveexec_b64 s[20:21], s[20:21]
; %bb.453:                              ;   in Loop: Header=BB12_49 Depth=1
	v_or_b32_e32 v3, 0x10000, v2
	v_cmp_eq_u32_sdwa vcc, v2, v31 src0_sel:WORD_0 src1_sel:DWORD
	s_nop 1
	v_cndmask_b32_e32 v24, v3, v2, vcc
; %bb.454:                              ;   in Loop: Header=BB12_49 Depth=1
	s_or_b64 exec, exec, s[20:21]
	v_accvgpr_read_b32 v32, a52
	v_mov_b32_e32 v2, v32
	v_mov_b32_e32 v3, v26
	v_and_b32_e32 v26, 0xffff0000, v3
	v_and_b32_e32 v2, 0xffff0000, v2
	v_pk_mul_f32 v[2:3], v[26:27], v[2:3] op_sel_hi:[0,1]
	v_and_b32_e32 v3, 0x7f800000, v2
	v_cmp_ne_u32_e32 vcc, s72, v3
	v_accvgpr_read_b32 v33, a53
	v_accvgpr_read_b32 v34, a54
	;; [unrolled: 1-line block ×3, first 2 shown]
                                        ; implicit-def: $vgpr25
	s_and_saveexec_b64 s[20:21], vcc
	s_xor_b64 s[20:21], exec, s[20:21]
; %bb.455:                              ;   in Loop: Header=BB12_49 Depth=1
	v_bfe_u32 v3, v2, 16, 1
	v_add3_u32 v25, v2, v3, s73
                                        ; implicit-def: $vgpr2_vgpr3
; %bb.456:                              ;   in Loop: Header=BB12_49 Depth=1
	s_andn2_saveexec_b64 s[20:21], s[20:21]
; %bb.457:                              ;   in Loop: Header=BB12_49 Depth=1
	v_or_b32_e32 v3, 0x10000, v2
	v_cmp_eq_u32_sdwa vcc, v2, v31 src0_sel:WORD_0 src1_sel:DWORD
	s_nop 1
	v_cndmask_b32_e32 v25, v3, v2, vcc
; %bb.458:                              ;   in Loop: Header=BB12_49 Depth=1
	s_or_b64 exec, exec, s[20:21]
	v_accvgpr_read_b32 v33, a53
	v_lshlrev_b32_e32 v2, 16, v27
	v_lshlrev_b32_e32 v26, 16, v33
	v_pk_mul_f32 v[2:3], v[2:3], v[26:27] op_sel_hi:[0,1]
	v_and_b32_e32 v3, 0x7f800000, v2
	v_cmp_ne_u32_e32 vcc, s72, v3
	v_accvgpr_read_b32 v34, a54
	v_accvgpr_read_b32 v35, a55
                                        ; implicit-def: $vgpr26
	s_and_saveexec_b64 s[20:21], vcc
	s_xor_b64 s[20:21], exec, s[20:21]
; %bb.459:                              ;   in Loop: Header=BB12_49 Depth=1
	v_bfe_u32 v3, v2, 16, 1
	v_add3_u32 v26, v2, v3, s73
                                        ; implicit-def: $vgpr2_vgpr3
; %bb.460:                              ;   in Loop: Header=BB12_49 Depth=1
	s_andn2_saveexec_b64 s[20:21], s[20:21]
; %bb.461:                              ;   in Loop: Header=BB12_49 Depth=1
	v_or_b32_e32 v3, 0x10000, v2
	v_cmp_eq_u32_sdwa vcc, v2, v31 src0_sel:WORD_0 src1_sel:DWORD
	s_nop 1
	v_cndmask_b32_e32 v26, v3, v2, vcc
; %bb.462:                              ;   in Loop: Header=BB12_49 Depth=1
	s_or_b64 exec, exec, s[20:21]
	v_accvgpr_read_b32 v33, a53
	v_mov_b32_e32 v2, v33
	v_and_b32_e32 v30, 0xffff0000, v27
	v_and_b32_e32 v2, 0xffff0000, v2
	v_pk_mul_f32 v[2:3], v[30:31], v[2:3] op_sel_hi:[0,1]
	v_and_b32_e32 v3, 0x7f800000, v2
	v_cmp_ne_u32_e32 vcc, s72, v3
	v_accvgpr_read_b32 v34, a54
	v_accvgpr_read_b32 v35, a55
                                        ; implicit-def: $vgpr27
	s_and_saveexec_b64 s[20:21], vcc
	s_xor_b64 s[20:21], exec, s[20:21]
; %bb.463:                              ;   in Loop: Header=BB12_49 Depth=1
	v_bfe_u32 v3, v2, 16, 1
	v_add3_u32 v27, v2, v3, s73
                                        ; implicit-def: $vgpr2_vgpr3
; %bb.464:                              ;   in Loop: Header=BB12_49 Depth=1
	s_andn2_saveexec_b64 s[20:21], s[20:21]
; %bb.465:                              ;   in Loop: Header=BB12_49 Depth=1
	v_or_b32_e32 v3, 0x10000, v2
	v_cmp_eq_u32_sdwa vcc, v2, v31 src0_sel:WORD_0 src1_sel:DWORD
	s_nop 1
	v_cndmask_b32_e32 v27, v3, v2, vcc
; %bb.466:                              ;   in Loop: Header=BB12_49 Depth=1
	s_or_b64 exec, exec, s[20:21]
	v_accvgpr_read_b32 v32, a54
	v_lshlrev_b32_e32 v2, 16, v28
	v_lshlrev_b32_e32 v30, 16, v32
	v_pk_mul_f32 v[2:3], v[2:3], v[30:31] op_sel_hi:[0,1]
	v_and_b32_e32 v3, 0x7f800000, v2
	v_cmp_ne_u32_e32 vcc, s72, v3
	v_accvgpr_read_b32 v33, a55
                                        ; implicit-def: $vgpr32
	s_and_saveexec_b64 s[20:21], vcc
	s_xor_b64 s[20:21], exec, s[20:21]
; %bb.467:                              ;   in Loop: Header=BB12_49 Depth=1
	v_bfe_u32 v3, v2, 16, 1
	v_add3_u32 v32, v2, v3, s73
                                        ; implicit-def: $vgpr2_vgpr3
; %bb.468:                              ;   in Loop: Header=BB12_49 Depth=1
	s_andn2_saveexec_b64 s[20:21], s[20:21]
; %bb.469:                              ;   in Loop: Header=BB12_49 Depth=1
	v_or_b32_e32 v3, 0x10000, v2
	v_cmp_eq_u32_sdwa vcc, v2, v31 src0_sel:WORD_0 src1_sel:DWORD
	s_nop 1
	v_cndmask_b32_e32 v32, v3, v2, vcc
; %bb.470:                              ;   in Loop: Header=BB12_49 Depth=1
	s_or_b64 exec, exec, s[20:21]
	v_accvgpr_read_b32 v2, a54
	v_accvgpr_read_b32 v3, a55
	v_mov_b32_e32 v3, v28
	v_and_b32_e32 v28, 0xffff0000, v3
	v_and_b32_e32 v2, 0xffff0000, v2
	v_pk_mul_f32 v[2:3], v[28:29], v[2:3] op_sel_hi:[0,1]
	v_and_b32_e32 v3, 0x7f800000, v2
	v_cmp_ne_u32_e32 vcc, s72, v3
                                        ; implicit-def: $vgpr28
	s_and_saveexec_b64 s[20:21], vcc
	s_xor_b64 s[20:21], exec, s[20:21]
; %bb.471:                              ;   in Loop: Header=BB12_49 Depth=1
	v_bfe_u32 v3, v2, 16, 1
	v_add3_u32 v28, v2, v3, s73
                                        ; implicit-def: $vgpr2_vgpr3
; %bb.472:                              ;   in Loop: Header=BB12_49 Depth=1
	s_andn2_saveexec_b64 s[20:21], s[20:21]
; %bb.473:                              ;   in Loop: Header=BB12_49 Depth=1
	v_or_b32_e32 v3, 0x10000, v2
	v_cmp_eq_u32_sdwa vcc, v2, v31 src0_sel:WORD_0 src1_sel:DWORD
	s_nop 1
	v_cndmask_b32_e32 v28, v3, v2, vcc
; %bb.474:                              ;   in Loop: Header=BB12_49 Depth=1
	s_or_b64 exec, exec, s[20:21]
	v_accvgpr_read_b32 v3, a55
	v_lshlrev_b32_e32 v2, 16, v29
	v_lshlrev_b32_e32 v30, 16, v3
	v_pk_mul_f32 v[2:3], v[2:3], v[30:31] op_sel_hi:[0,1]
	v_and_b32_e32 v3, 0x7f800000, v2
	v_cmp_ne_u32_e32 vcc, s72, v3
                                        ; implicit-def: $vgpr33
	s_and_saveexec_b64 s[20:21], vcc
	s_xor_b64 s[20:21], exec, s[20:21]
; %bb.475:                              ;   in Loop: Header=BB12_49 Depth=1
	v_bfe_u32 v3, v2, 16, 1
	v_add3_u32 v33, v2, v3, s73
                                        ; implicit-def: $vgpr2_vgpr3
; %bb.476:                              ;   in Loop: Header=BB12_49 Depth=1
	s_andn2_saveexec_b64 s[20:21], s[20:21]
; %bb.477:                              ;   in Loop: Header=BB12_49 Depth=1
	v_or_b32_e32 v3, 0x10000, v2
	v_cmp_eq_u32_sdwa vcc, v2, v31 src0_sel:WORD_0 src1_sel:DWORD
	s_nop 1
	v_cndmask_b32_e32 v33, v3, v2, vcc
; %bb.478:                              ;   in Loop: Header=BB12_49 Depth=1
	s_or_b64 exec, exec, s[20:21]
	v_accvgpr_read_b32 v2, a55
	v_and_b32_e32 v30, 0xffff0000, v29
	v_and_b32_e32 v2, 0xffff0000, v2
	v_pk_mul_f32 v[2:3], v[30:31], v[2:3] op_sel_hi:[0,1]
	v_and_b32_e32 v3, 0x7f800000, v2
	v_cmp_ne_u32_e32 vcc, s72, v3
                                        ; implicit-def: $vgpr29
	s_and_saveexec_b64 s[20:21], vcc
	s_xor_b64 s[20:21], exec, s[20:21]
; %bb.479:                              ;   in Loop: Header=BB12_49 Depth=1
	v_bfe_u32 v3, v2, 16, 1
	v_add3_u32 v29, v2, v3, s73
                                        ; implicit-def: $vgpr2_vgpr3
; %bb.480:                              ;   in Loop: Header=BB12_49 Depth=1
	s_andn2_saveexec_b64 s[20:21], s[20:21]
; %bb.481:                              ;   in Loop: Header=BB12_49 Depth=1
	v_or_b32_e32 v3, 0x10000, v2
	v_cmp_eq_u32_sdwa vcc, v2, v31 src0_sel:WORD_0 src1_sel:DWORD
	s_nop 1
	v_cndmask_b32_e32 v29, v3, v2, vcc
; %bb.482:                              ;   in Loop: Header=BB12_49 Depth=1
	s_or_b64 exec, exec, s[20:21]
	v_accvgpr_read_b32 v37, a7
	v_accvgpr_read_b32 v34, a4
	v_lshlrev_b32_e32 v2, 16, v14
	v_lshlrev_b32_e32 v30, 16, v34
	v_pk_mul_f32 v[2:3], v[2:3], v[30:31] op_sel_hi:[0,1]
	v_and_b32_e32 v3, 0x7f800000, v2
	v_cmp_ne_u32_e32 vcc, s72, v3
	v_accvgpr_read_b32 v36, a6
	v_accvgpr_read_b32 v35, a5
                                        ; implicit-def: $vgpr34
	s_and_saveexec_b64 s[20:21], vcc
	s_xor_b64 s[20:21], exec, s[20:21]
; %bb.483:                              ;   in Loop: Header=BB12_49 Depth=1
	v_bfe_u32 v3, v2, 16, 1
	v_add3_u32 v34, v2, v3, s73
                                        ; implicit-def: $vgpr2_vgpr3
; %bb.484:                              ;   in Loop: Header=BB12_49 Depth=1
	s_andn2_saveexec_b64 s[20:21], s[20:21]
; %bb.485:                              ;   in Loop: Header=BB12_49 Depth=1
	v_or_b32_e32 v3, 0x10000, v2
	v_cmp_eq_u32_sdwa vcc, v2, v31 src0_sel:WORD_0 src1_sel:DWORD
	s_nop 1
	v_cndmask_b32_e32 v34, v3, v2, vcc
; %bb.486:                              ;   in Loop: Header=BB12_49 Depth=1
	s_or_b64 exec, exec, s[20:21]
	v_accvgpr_read_b32 v39, a7
	v_accvgpr_read_b32 v36, a4
	v_mov_b32_e32 v2, v36
	v_mov_b32_e32 v3, v14
	v_and_b32_e32 v14, 0xffff0000, v3
	v_and_b32_e32 v2, 0xffff0000, v2
	v_pk_mul_f32 v[2:3], v[14:15], v[2:3] op_sel_hi:[0,1]
	v_and_b32_e32 v3, 0x7f800000, v2
	v_cmp_ne_u32_e32 vcc, s72, v3
	v_accvgpr_read_b32 v38, a6
	v_accvgpr_read_b32 v37, a5
                                        ; implicit-def: $vgpr14
	s_and_saveexec_b64 s[20:21], vcc
	s_xor_b64 s[20:21], exec, s[20:21]
; %bb.487:                              ;   in Loop: Header=BB12_49 Depth=1
	v_bfe_u32 v3, v2, 16, 1
	v_add3_u32 v14, v2, v3, s73
                                        ; implicit-def: $vgpr2_vgpr3
; %bb.488:                              ;   in Loop: Header=BB12_49 Depth=1
	s_andn2_saveexec_b64 s[20:21], s[20:21]
; %bb.489:                              ;   in Loop: Header=BB12_49 Depth=1
	v_or_b32_e32 v3, 0x10000, v2
	v_cmp_eq_u32_sdwa vcc, v2, v31 src0_sel:WORD_0 src1_sel:DWORD
	s_nop 1
	v_cndmask_b32_e32 v14, v3, v2, vcc
; %bb.490:                              ;   in Loop: Header=BB12_49 Depth=1
	s_or_b64 exec, exec, s[20:21]
	v_accvgpr_read_b32 v37, a7
	v_accvgpr_read_b32 v35, a5
	v_lshlrev_b32_e32 v2, 16, v15
	v_lshlrev_b32_e32 v30, 16, v35
	v_pk_mul_f32 v[2:3], v[2:3], v[30:31] op_sel_hi:[0,1]
	v_and_b32_e32 v3, 0x7f800000, v2
	v_cmp_ne_u32_e32 vcc, s72, v3
	v_accvgpr_read_b32 v36, a6
                                        ; implicit-def: $vgpr35
	s_and_saveexec_b64 s[20:21], vcc
	s_xor_b64 s[20:21], exec, s[20:21]
; %bb.491:                              ;   in Loop: Header=BB12_49 Depth=1
	v_bfe_u32 v3, v2, 16, 1
	v_add3_u32 v35, v2, v3, s73
                                        ; implicit-def: $vgpr2_vgpr3
; %bb.492:                              ;   in Loop: Header=BB12_49 Depth=1
	s_andn2_saveexec_b64 s[20:21], s[20:21]
; %bb.493:                              ;   in Loop: Header=BB12_49 Depth=1
	v_or_b32_e32 v3, 0x10000, v2
	v_cmp_eq_u32_sdwa vcc, v2, v31 src0_sel:WORD_0 src1_sel:DWORD
	s_nop 1
	v_cndmask_b32_e32 v35, v3, v2, vcc
; %bb.494:                              ;   in Loop: Header=BB12_49 Depth=1
	s_or_b64 exec, exec, s[20:21]
	v_accvgpr_read_b32 v39, a7
	v_accvgpr_read_b32 v37, a5
	v_mov_b32_e32 v2, v37
	v_and_b32_e32 v30, 0xffff0000, v15
	v_and_b32_e32 v2, 0xffff0000, v2
	v_pk_mul_f32 v[2:3], v[30:31], v[2:3] op_sel_hi:[0,1]
	v_and_b32_e32 v3, 0x7f800000, v2
	v_cmp_ne_u32_e32 vcc, s72, v3
	v_accvgpr_read_b32 v38, a6
                                        ; implicit-def: $vgpr15
	s_and_saveexec_b64 s[20:21], vcc
	s_xor_b64 s[20:21], exec, s[20:21]
; %bb.495:                              ;   in Loop: Header=BB12_49 Depth=1
	v_bfe_u32 v3, v2, 16, 1
	v_add3_u32 v15, v2, v3, s73
                                        ; implicit-def: $vgpr2_vgpr3
; %bb.496:                              ;   in Loop: Header=BB12_49 Depth=1
	s_andn2_saveexec_b64 s[20:21], s[20:21]
; %bb.497:                              ;   in Loop: Header=BB12_49 Depth=1
	v_or_b32_e32 v3, 0x10000, v2
	v_cmp_eq_u32_sdwa vcc, v2, v31 src0_sel:WORD_0 src1_sel:DWORD
	s_nop 1
	v_cndmask_b32_e32 v15, v3, v2, vcc
; %bb.498:                              ;   in Loop: Header=BB12_49 Depth=1
	s_or_b64 exec, exec, s[20:21]
	v_accvgpr_read_b32 v37, a7
	v_accvgpr_read_b32 v36, a6
	v_lshlrev_b32_e32 v2, 16, v16
	v_lshlrev_b32_e32 v30, 16, v36
	v_pk_mul_f32 v[2:3], v[2:3], v[30:31] op_sel_hi:[0,1]
	v_and_b32_e32 v3, 0x7f800000, v2
	v_cmp_ne_u32_e32 vcc, s72, v3
                                        ; implicit-def: $vgpr36
	s_and_saveexec_b64 s[20:21], vcc
	s_xor_b64 s[20:21], exec, s[20:21]
; %bb.499:                              ;   in Loop: Header=BB12_49 Depth=1
	v_bfe_u32 v3, v2, 16, 1
	v_add3_u32 v36, v2, v3, s73
                                        ; implicit-def: $vgpr2_vgpr3
; %bb.500:                              ;   in Loop: Header=BB12_49 Depth=1
	s_andn2_saveexec_b64 s[20:21], s[20:21]
; %bb.501:                              ;   in Loop: Header=BB12_49 Depth=1
	v_or_b32_e32 v3, 0x10000, v2
	v_cmp_eq_u32_sdwa vcc, v2, v31 src0_sel:WORD_0 src1_sel:DWORD
	s_nop 1
	v_cndmask_b32_e32 v36, v3, v2, vcc
; %bb.502:                              ;   in Loop: Header=BB12_49 Depth=1
	s_or_b64 exec, exec, s[20:21]
	v_accvgpr_read_b32 v2, a6
	v_accvgpr_read_b32 v3, a7
	v_mov_b32_e32 v3, v16
	v_and_b32_e32 v16, 0xffff0000, v3
	v_and_b32_e32 v2, 0xffff0000, v2
	v_pk_mul_f32 v[2:3], v[16:17], v[2:3] op_sel_hi:[0,1]
	v_and_b32_e32 v3, 0x7f800000, v2
	v_cmp_ne_u32_e32 vcc, s72, v3
                                        ; implicit-def: $vgpr16
	s_and_saveexec_b64 s[20:21], vcc
	s_xor_b64 s[20:21], exec, s[20:21]
; %bb.503:                              ;   in Loop: Header=BB12_49 Depth=1
	v_bfe_u32 v3, v2, 16, 1
	v_add3_u32 v16, v2, v3, s73
                                        ; implicit-def: $vgpr2_vgpr3
; %bb.504:                              ;   in Loop: Header=BB12_49 Depth=1
	s_andn2_saveexec_b64 s[20:21], s[20:21]
; %bb.505:                              ;   in Loop: Header=BB12_49 Depth=1
	v_or_b32_e32 v3, 0x10000, v2
	v_cmp_eq_u32_sdwa vcc, v2, v31 src0_sel:WORD_0 src1_sel:DWORD
	s_nop 1
	v_cndmask_b32_e32 v16, v3, v2, vcc
; %bb.506:                              ;   in Loop: Header=BB12_49 Depth=1
	s_or_b64 exec, exec, s[20:21]
	v_accvgpr_read_b32 v3, a7
	v_lshlrev_b32_e32 v2, 16, v17
	v_lshlrev_b32_e32 v30, 16, v3
	v_pk_mul_f32 v[2:3], v[2:3], v[30:31] op_sel_hi:[0,1]
	v_and_b32_e32 v3, 0x7f800000, v2
	v_cmp_ne_u32_e32 vcc, s72, v3
                                        ; implicit-def: $vgpr30
	s_and_saveexec_b64 s[20:21], vcc
	s_xor_b64 s[20:21], exec, s[20:21]
; %bb.507:                              ;   in Loop: Header=BB12_49 Depth=1
	v_bfe_u32 v3, v2, 16, 1
	v_add3_u32 v30, v2, v3, s73
                                        ; implicit-def: $vgpr2_vgpr3
; %bb.508:                              ;   in Loop: Header=BB12_49 Depth=1
	s_andn2_saveexec_b64 s[20:21], s[20:21]
; %bb.509:                              ;   in Loop: Header=BB12_49 Depth=1
	v_or_b32_e32 v3, 0x10000, v2
	v_cmp_eq_u32_sdwa vcc, v2, v31 src0_sel:WORD_0 src1_sel:DWORD
	s_nop 1
	v_cndmask_b32_e32 v30, v3, v2, vcc
; %bb.510:                              ;   in Loop: Header=BB12_49 Depth=1
	s_or_b64 exec, exec, s[20:21]
	v_accvgpr_read_b32 v2, a7
	v_and_b32_e32 v38, 0xffff0000, v17
	v_and_b32_e32 v2, 0xffff0000, v2
	v_pk_mul_f32 v[2:3], v[38:39], v[2:3] op_sel_hi:[0,1]
	v_and_b32_e32 v3, 0x7f800000, v2
	v_cmp_ne_u32_e32 vcc, s72, v3
                                        ; implicit-def: $vgpr17
	s_and_saveexec_b64 s[20:21], vcc
	s_xor_b64 s[20:21], exec, s[20:21]
; %bb.511:                              ;   in Loop: Header=BB12_49 Depth=1
	v_bfe_u32 v3, v2, 16, 1
	v_add3_u32 v17, v2, v3, s73
                                        ; implicit-def: $vgpr2_vgpr3
; %bb.512:                              ;   in Loop: Header=BB12_49 Depth=1
	s_andn2_saveexec_b64 s[20:21], s[20:21]
; %bb.513:                              ;   in Loop: Header=BB12_49 Depth=1
	v_or_b32_e32 v3, 0x10000, v2
	v_cmp_eq_u32_sdwa vcc, v2, v31 src0_sel:WORD_0 src1_sel:DWORD
	s_nop 1
	v_cndmask_b32_e32 v17, v3, v2, vcc
; %bb.514:                              ;   in Loop: Header=BB12_49 Depth=1
	s_or_b64 exec, exec, s[20:21]
	v_lshrrev_b32_e32 v2, 16, v26
	v_and_or_b32 v27, v27, s74, v2
	v_lshrrev_b32_e32 v2, 16, v24
	v_and_or_b32 v26, v25, s74, v2
	;; [unrolled: 2-line block ×10, first 2 shown]
	v_lshrrev_b32_e32 v4, 16, v8
	v_lshrrev_b32_e32 v5, 16, v10
	;; [unrolled: 1-line block ×3, first 2 shown]
	v_and_or_b32 v4, v9, s74, v4
	v_and_or_b32 v5, v11, s74, v5
	;; [unrolled: 1-line block ×3, first 2 shown]
	v_lshrrev_b32_e32 v6, 16, v34
	v_lshrrev_b32_e32 v8, 16, v36
	;; [unrolled: 1-line block ×3, first 2 shown]
	v_and_or_b32 v6, v14, s74, v6
	v_and_or_b32 v8, v16, s74, v8
	;; [unrolled: 1-line block ×3, first 2 shown]
	global_store_dwordx4 v[0:1], v[2:5], off nt
	global_store_dwordx4 v[0:1], v[18:21], off offset:1024 nt
	global_store_dwordx4 v[0:1], v[26:29], off offset:2048 nt
	;; [unrolled: 1-line block ×3, first 2 shown]
.LBB12_515:                             ;   in Loop: Header=BB12_49 Depth=1
	s_or_b64 exec, exec, s[18:19]
	scratch_load_dword v0, off, s33 offset:328 ; 4-byte Folded Reload
	scratch_load_dword v45, off, s33 offset:324 ; 4-byte Folded Reload
	s_mov_b64 s[18:19], 0
	v_mov_b32_e32 v3, 0
                                        ; implicit-def: $vgpr2
	s_waitcnt vmcnt(1)
	v_lshlrev_b32_e32 v16, 12, v0
	s_waitcnt vmcnt(0)
	v_cmp_ne_u32_e32 vcc, v45, v16
                                        ; implicit-def: $vgpr0
	s_mov_b64 s[52:53], exec
	scratch_load_dwordx2 v[26:27], off, s33 offset:412 ; 8-byte Folded Reload
	scratch_load_dwordx2 v[28:29], off, s33 offset:420 ; 8-byte Folded Reload
	;; [unrolled: 1-line block ×4, first 2 shown]
	scratch_load_dword v25, off, s33 offset:316 ; 4-byte Folded Reload
	s_and_b64 s[20:21], s[52:53], vcc
	s_waitcnt vmcnt(1)
	v_mov_b32_e32 v44, v4
	s_mov_b64 exec, s[20:21]
	s_cbranch_execz .LBB12_630
; %bb.516:                              ;   in Loop: Header=BB12_49 Depth=1
	v_lshlrev_b32_e32 v1, 6, v52
	v_sub_u32_e32 v1, v48, v1
	v_ashrrev_i32_e32 v2, 31, v1
	v_lshrrev_b32_e32 v2, 26, v2
	v_add_u32_e32 v2, v1, v2
	v_ashrrev_i32_e32 v4, 6, v2
	v_and_b32_e32 v2, 0xffffffc0, v2
	v_sub_u32_e32 v17, v1, v2
	v_lshlrev_b32_e32 v1, 4, v17
	v_sub_u32_e32 v0, v45, v16
	v_lshl_add_u32 v1, v4, 10, v1
	v_add_u32_e32 v2, v1, v16
	v_sub_u32_e32 v21, v0, v1
	v_ashrrev_i32_e32 v1, 31, v0
	v_lshrrev_b32_e32 v1, 22, v1
	v_add_u32_e32 v1, v0, v1
	v_and_b32_e32 v18, 0xfffffc00, v1
	v_sub_u32_e32 v19, v0, v18
	v_ashrrev_i32_e32 v3, 10, v1
	v_cmp_lt_i32_e64 s[18:19], 15, v19
	s_mov_b64 s[22:23], 0
	s_nop 0
	v_addc_co_u32_e64 v0, vcc, 0, v3, s[18:19]
	v_sub_u32_e32 v20, v0, v4
	scratch_load_dwordx2 v[0:1], off, s33 offset:308 ; 8-byte Folded Reload
	v_ashrrev_i32_e32 v3, 31, v2
	v_cmp_lt_i32_e32 vcc, 15, v21
	s_waitcnt vmcnt(0)
	v_lshl_add_u64 v[0:1], v[2:3], 0, v[0:1]
	s_and_saveexec_b64 s[54:55], vcc
	s_cbranch_execz .LBB12_593
; %bb.517:                              ;   in Loop: Header=BB12_49 Depth=1
	s_trap 2
	ds_read_b128 v[4:7], v0
	s_mov_b64 s[60:61], 0
	s_mov_b64 s[56:57], 0
                                        ; implicit-def: $sgpr58_sgpr59
	s_waitcnt lgkmcnt(0)
	v_lshl_add_u64 v[10:11], v[4:5], 0, v[2:3]
	v_lshl_add_u64 v[12:13], v[6:7], 0, v[2:3]
	s_branch .LBB12_519
.LBB12_518:                             ;   in Loop: Header=BB12_519 Depth=2
	s_or_b64 exec, exec, s[20:21]
	v_cmp_gt_i32_e32 vcc, 16, v21
	s_or_b64 s[56:57], vcc, s[56:57]
	s_andn2_b64 s[20:21], s[58:59], exec
	s_and_b64 s[22:23], s[60:61], exec
	s_or_b64 s[58:59], s[20:21], s[22:23]
	s_andn2_b64 exec, exec, s[56:57]
	s_cbranch_execz .LBB12_592
.LBB12_519:                             ;   Parent Loop BB12_49 Depth=1
                                        ; =>  This Loop Header: Depth=2
                                        ;       Child Loop BB12_520 Depth 3
                                        ;       Child Loop BB12_557 Depth 3
	s_add_i32 s20, s33, 0xc0
	v_mov_b32_e32 v2, s20
	s_mov_b64 s[62:63], -1
	s_mov_b64 s[64:65], 0
.LBB12_520:                             ;   Parent Loop BB12_49 Depth=1
                                        ;     Parent Loop BB12_519 Depth=2
                                        ; =>    This Inner Loop Header: Depth=3
	s_cmp_eq_u32 s64, 1
	s_cselect_b64 vcc, -1, 0
	v_cndmask_b32_e32 v9, v11, v13, vcc
	v_cndmask_b32_e32 v8, v10, v12, vcc
	global_load_dwordx4 v[4:7], v[8:9], off nt
	s_cmp_eq_u32 s64, 0
	v_lshl_add_u64 v[8:9], v[8:9], 0, s[38:39]
	s_cselect_b64 s[20:21], -1, 0
	s_and_b64 s[22:23], exec, s[62:63]
	s_mov_b64 s[64:65], 1
	s_mov_b64 s[62:63], 0
	v_cndmask_b32_e64 v11, v11, v9, s[20:21]
	v_cndmask_b32_e64 v10, v10, v8, s[20:21]
	v_cndmask_b32_e32 v13, v13, v9, vcc
	v_cndmask_b32_e32 v12, v12, v8, vcc
	s_mov_b64 vcc, s[22:23]
	s_waitcnt vmcnt(0)
	scratch_store_dwordx4 v2, v[4:7], off
	v_mov_b32_e32 v2, v51
	s_cbranch_vccnz .LBB12_520
; %bb.521:                              ;   in Loop: Header=BB12_519 Depth=2
	s_and_saveexec_b64 s[20:21], s[60:61]
	s_cbranch_execz .LBB12_555
; %bb.522:                              ;   in Loop: Header=BB12_519 Depth=2
	scratch_load_dwordx4 v[2:5], off, s33 offset:240
	scratch_load_dwordx4 v[6:9], off, s33 offset:224
	s_waitcnt vmcnt(1)
	v_lshlrev_b32_e32 v14, 16, v2
	s_waitcnt vmcnt(0)
	v_lshlrev_b32_e32 v22, 16, v6
	v_pk_mul_f32 v[14:15], v[14:15], v[22:23] op_sel_hi:[0,1]
	v_and_b32_e32 v15, 0x7f800000, v14
	v_cmp_ne_u32_e32 vcc, s72, v15
                                        ; implicit-def: $vgpr22
	s_and_saveexec_b64 s[22:23], vcc
	s_xor_b64 s[22:23], exec, s[22:23]
; %bb.523:                              ;   in Loop: Header=BB12_519 Depth=2
	v_bfe_u32 v15, v14, 16, 1
	v_add3_u32 v22, v14, v15, s73
                                        ; implicit-def: $vgpr14_vgpr15
; %bb.524:                              ;   in Loop: Header=BB12_519 Depth=2
	s_andn2_saveexec_b64 s[22:23], s[22:23]
; %bb.525:                              ;   in Loop: Header=BB12_519 Depth=2
	v_or_b32_e32 v15, 0x10000, v14
	v_cmp_eq_u32_sdwa vcc, v14, v31 src0_sel:WORD_0 src1_sel:DWORD
	s_nop 1
	v_cndmask_b32_e32 v22, v15, v14, vcc
; %bb.526:                              ;   in Loop: Header=BB12_519 Depth=2
	s_or_b64 exec, exec, s[22:23]
	v_and_b32_e32 v2, 0xffff0000, v2
	v_and_b32_e32 v6, 0xffff0000, v6
	v_pk_mul_f32 v[14:15], v[2:3], v[6:7] op_sel_hi:[0,1]
	v_and_b32_e32 v2, 0x7f800000, v14
	v_cmp_ne_u32_e32 vcc, s72, v2
                                        ; implicit-def: $vgpr23
	s_and_saveexec_b64 s[22:23], vcc
	s_xor_b64 s[22:23], exec, s[22:23]
; %bb.527:                              ;   in Loop: Header=BB12_519 Depth=2
	v_bfe_u32 v2, v14, 16, 1
	v_add3_u32 v23, v14, v2, s73
                                        ; implicit-def: $vgpr14_vgpr15
; %bb.528:                              ;   in Loop: Header=BB12_519 Depth=2
	s_andn2_saveexec_b64 s[22:23], s[22:23]
; %bb.529:                              ;   in Loop: Header=BB12_519 Depth=2
	v_or_b32_e32 v2, 0x10000, v14
	v_cmp_eq_u32_sdwa vcc, v14, v31 src0_sel:WORD_0 src1_sel:DWORD
	s_nop 1
	v_cndmask_b32_e32 v23, v2, v14, vcc
; %bb.530:                              ;   in Loop: Header=BB12_519 Depth=2
	s_or_b64 exec, exec, s[22:23]
	v_lshlrev_b32_e32 v2, 16, v3
	v_lshlrev_b32_e32 v6, 16, v7
	v_pk_mul_f32 v[14:15], v[2:3], v[6:7] op_sel_hi:[0,1]
	v_and_b32_e32 v2, 0x7f800000, v14
	v_cmp_ne_u32_e32 vcc, s72, v2
                                        ; implicit-def: $vgpr24
	s_and_saveexec_b64 s[22:23], vcc
	s_xor_b64 s[22:23], exec, s[22:23]
; %bb.531:                              ;   in Loop: Header=BB12_519 Depth=2
	v_bfe_u32 v2, v14, 16, 1
	v_add3_u32 v24, v14, v2, s73
                                        ; implicit-def: $vgpr14_vgpr15
; %bb.532:                              ;   in Loop: Header=BB12_519 Depth=2
	s_andn2_saveexec_b64 s[22:23], s[22:23]
; %bb.533:                              ;   in Loop: Header=BB12_519 Depth=2
	v_or_b32_e32 v2, 0x10000, v14
	v_cmp_eq_u32_sdwa vcc, v14, v31 src0_sel:WORD_0 src1_sel:DWORD
	s_nop 1
	v_cndmask_b32_e32 v24, v2, v14, vcc
; %bb.534:                              ;   in Loop: Header=BB12_519 Depth=2
	s_or_b64 exec, exec, s[22:23]
	v_and_b32_e32 v2, 0xffff0000, v3
	v_and_b32_e32 v6, 0xffff0000, v7
	v_pk_mul_f32 v[2:3], v[2:3], v[6:7] op_sel_hi:[0,1]
	v_and_b32_e32 v3, 0x7f800000, v2
	v_cmp_ne_u32_e32 vcc, s72, v3
                                        ; implicit-def: $vgpr14
	s_and_saveexec_b64 s[22:23], vcc
	s_xor_b64 s[22:23], exec, s[22:23]
; %bb.535:                              ;   in Loop: Header=BB12_519 Depth=2
	v_bfe_u32 v3, v2, 16, 1
	v_add3_u32 v14, v2, v3, s73
                                        ; implicit-def: $vgpr2_vgpr3
; %bb.536:                              ;   in Loop: Header=BB12_519 Depth=2
	s_andn2_saveexec_b64 s[22:23], s[22:23]
; %bb.537:                              ;   in Loop: Header=BB12_519 Depth=2
	v_or_b32_e32 v3, 0x10000, v2
	v_cmp_eq_u32_sdwa vcc, v2, v31 src0_sel:WORD_0 src1_sel:DWORD
	s_nop 1
	v_cndmask_b32_e32 v14, v3, v2, vcc
; %bb.538:                              ;   in Loop: Header=BB12_519 Depth=2
	s_or_b64 exec, exec, s[22:23]
	v_lshlrev_b32_e32 v2, 16, v4
	v_lshlrev_b32_e32 v6, 16, v8
	v_pk_mul_f32 v[2:3], v[2:3], v[6:7] op_sel_hi:[0,1]
	v_and_b32_e32 v3, 0x7f800000, v2
	v_cmp_ne_u32_e32 vcc, s72, v3
                                        ; implicit-def: $vgpr15
	s_and_saveexec_b64 s[22:23], vcc
	s_xor_b64 s[22:23], exec, s[22:23]
; %bb.539:                              ;   in Loop: Header=BB12_519 Depth=2
	v_bfe_u32 v3, v2, 16, 1
	v_add3_u32 v15, v2, v3, s73
                                        ; implicit-def: $vgpr2_vgpr3
; %bb.540:                              ;   in Loop: Header=BB12_519 Depth=2
	s_andn2_saveexec_b64 s[22:23], s[22:23]
; %bb.541:                              ;   in Loop: Header=BB12_519 Depth=2
	v_or_b32_e32 v3, 0x10000, v2
	v_cmp_eq_u32_sdwa vcc, v2, v31 src0_sel:WORD_0 src1_sel:DWORD
	s_nop 1
	v_cndmask_b32_e32 v15, v3, v2, vcc
; %bb.542:                              ;   in Loop: Header=BB12_519 Depth=2
	s_or_b64 exec, exec, s[22:23]
	v_and_b32_e32 v2, 0xffff0000, v4
	v_and_b32_e32 v4, 0xffff0000, v8
	v_pk_mul_f32 v[2:3], v[2:3], v[4:5] op_sel_hi:[0,1]
	v_and_b32_e32 v3, 0x7f800000, v2
	v_cmp_ne_u32_e32 vcc, s72, v3
                                        ; implicit-def: $vgpr4
	s_and_saveexec_b64 s[22:23], vcc
	s_xor_b64 s[22:23], exec, s[22:23]
; %bb.543:                              ;   in Loop: Header=BB12_519 Depth=2
	v_bfe_u32 v3, v2, 16, 1
	v_add3_u32 v4, v2, v3, s73
                                        ; implicit-def: $vgpr2_vgpr3
; %bb.544:                              ;   in Loop: Header=BB12_519 Depth=2
	s_andn2_saveexec_b64 s[22:23], s[22:23]
; %bb.545:                              ;   in Loop: Header=BB12_519 Depth=2
	v_or_b32_e32 v3, 0x10000, v2
	v_cmp_eq_u32_sdwa vcc, v2, v31 src0_sel:WORD_0 src1_sel:DWORD
	s_nop 1
	v_cndmask_b32_e32 v4, v3, v2, vcc
; %bb.546:                              ;   in Loop: Header=BB12_519 Depth=2
	s_or_b64 exec, exec, s[22:23]
	v_mov_b32_e32 v3, v9
	v_lshlrev_b32_e32 v2, 16, v5
	v_lshlrev_b32_e32 v6, 16, v3
	v_pk_mul_f32 v[6:7], v[2:3], v[6:7] op_sel_hi:[0,1]
	v_and_b32_e32 v2, 0x7f800000, v6
	v_cmp_ne_u32_e32 vcc, s72, v2
                                        ; implicit-def: $vgpr8
	s_and_saveexec_b64 s[22:23], vcc
	s_xor_b64 s[22:23], exec, s[22:23]
; %bb.547:                              ;   in Loop: Header=BB12_519 Depth=2
	v_bfe_u32 v2, v6, 16, 1
	v_add3_u32 v8, v6, v2, s73
                                        ; implicit-def: $vgpr6_vgpr7
; %bb.548:                              ;   in Loop: Header=BB12_519 Depth=2
	s_andn2_saveexec_b64 s[22:23], s[22:23]
; %bb.549:                              ;   in Loop: Header=BB12_519 Depth=2
	v_or_b32_e32 v2, 0x10000, v6
	v_cmp_eq_u32_sdwa vcc, v6, v31 src0_sel:WORD_0 src1_sel:DWORD
	s_nop 1
	v_cndmask_b32_e32 v8, v2, v6, vcc
; %bb.550:                              ;   in Loop: Header=BB12_519 Depth=2
	s_or_b64 exec, exec, s[22:23]
	v_and_b32_e32 v2, 0xffff0000, v5
	v_and_b32_e32 v6, 0xffff0000, v3
	v_pk_mul_f32 v[2:3], v[2:3], v[6:7] op_sel_hi:[0,1]
	v_and_b32_e32 v3, 0x7f800000, v2
	v_cmp_ne_u32_e32 vcc, s72, v3
                                        ; implicit-def: $vgpr5
	s_and_saveexec_b64 s[22:23], vcc
	s_xor_b64 s[22:23], exec, s[22:23]
; %bb.551:                              ;   in Loop: Header=BB12_519 Depth=2
	v_bfe_u32 v3, v2, 16, 1
	v_add3_u32 v5, v2, v3, s73
                                        ; implicit-def: $vgpr2_vgpr3
; %bb.552:                              ;   in Loop: Header=BB12_519 Depth=2
	s_andn2_saveexec_b64 s[22:23], s[22:23]
; %bb.553:                              ;   in Loop: Header=BB12_519 Depth=2
	v_or_b32_e32 v3, 0x10000, v2
	v_cmp_eq_u32_sdwa vcc, v2, v31 src0_sel:WORD_0 src1_sel:DWORD
	s_nop 1
	v_cndmask_b32_e32 v5, v3, v2, vcc
; %bb.554:                              ;   in Loop: Header=BB12_519 Depth=2
	s_or_b64 exec, exec, s[22:23]
	v_lshrrev_b32_e32 v2, 16, v24
	v_lshrrev_b32_e32 v6, 16, v15
	v_and_or_b32 v3, v14, s74, v2
	v_lshrrev_b32_e32 v2, 16, v22
	v_and_or_b32 v4, v4, s74, v6
	;; [unrolled: 2-line block ×3, first 2 shown]
	v_and_or_b32 v5, v5, s74, v6
	scratch_store_dwordx4 off, v[2:5], s33 offset:224
	global_store_dwordx4 v[0:1], v[2:5], off nt
	v_lshl_add_u64 v[0:1], v[28:29], 0, v[0:1]
.LBB12_555:                             ;   in Loop: Header=BB12_519 Depth=2
	s_or_b64 exec, exec, s[20:21]
	v_sub_u32_e32 v21, v21, v53
	v_lshl_add_u64 v[10:11], v[10:11], 0, v[26:27]
	v_lshl_add_u64 v[12:13], v[12:13], 0, v[26:27]
	v_cmp_lt_i32_e64 s[60:61], 15, v21
	s_and_saveexec_b64 s[62:63], s[60:61]
	s_cbranch_execz .LBB12_558
; %bb.556:                              ;   in Loop: Header=BB12_519 Depth=2
	s_add_i32 s20, s33, 0xe0
	v_mov_b32_e32 v2, s20
	s_mov_b64 s[66:67], 0
	s_mov_b64 s[64:65], -1
.LBB12_557:                             ;   Parent Loop BB12_49 Depth=1
                                        ;     Parent Loop BB12_519 Depth=2
                                        ; =>    This Inner Loop Header: Depth=3
	s_cmp_eq_u32 s66, 1
	s_cselect_b64 vcc, -1, 0
	v_cndmask_b32_e32 v9, v11, v13, vcc
	v_cndmask_b32_e32 v8, v10, v12, vcc
	global_load_dwordx4 v[4:7], v[8:9], off nt
	s_cmp_eq_u32 s66, 0
	v_lshl_add_u64 v[8:9], v[8:9], 0, s[38:39]
	s_cselect_b64 s[20:21], -1, 0
	s_and_b64 s[22:23], exec, s[64:65]
	s_mov_b64 s[66:67], 1
	s_mov_b64 s[64:65], 0
	v_cndmask_b32_e64 v11, v11, v9, s[20:21]
	v_cndmask_b32_e64 v10, v10, v8, s[20:21]
	v_cndmask_b32_e32 v13, v13, v9, vcc
	v_cndmask_b32_e32 v12, v12, v8, vcc
	s_mov_b64 vcc, s[22:23]
	s_waitcnt vmcnt(0)
	scratch_store_dwordx4 v2, v[4:7], off
	v_mov_b32_e32 v2, v50
	s_cbranch_vccnz .LBB12_557
.LBB12_558:                             ;   in Loop: Header=BB12_519 Depth=2
	s_or_b64 exec, exec, s[62:63]
	scratch_load_dwordx4 v[2:5], off, s33 offset:208
	scratch_load_dwordx4 v[6:9], off, s33 offset:192
	s_waitcnt vmcnt(1)
	v_lshlrev_b32_e32 v14, 16, v2
	s_waitcnt vmcnt(0)
	v_lshlrev_b32_e32 v22, 16, v6
	v_pk_mul_f32 v[14:15], v[14:15], v[22:23] op_sel_hi:[0,1]
	v_and_b32_e32 v15, 0x7f800000, v14
	v_cmp_ne_u32_e32 vcc, s72, v15
                                        ; implicit-def: $vgpr22
	s_and_saveexec_b64 s[20:21], vcc
	s_xor_b64 s[20:21], exec, s[20:21]
; %bb.559:                              ;   in Loop: Header=BB12_519 Depth=2
	v_bfe_u32 v15, v14, 16, 1
	v_add3_u32 v22, v14, v15, s73
                                        ; implicit-def: $vgpr14_vgpr15
; %bb.560:                              ;   in Loop: Header=BB12_519 Depth=2
	s_andn2_saveexec_b64 s[20:21], s[20:21]
; %bb.561:                              ;   in Loop: Header=BB12_519 Depth=2
	v_or_b32_e32 v15, 0x10000, v14
	v_cmp_eq_u32_sdwa vcc, v14, v31 src0_sel:WORD_0 src1_sel:DWORD
	s_nop 1
	v_cndmask_b32_e32 v22, v15, v14, vcc
; %bb.562:                              ;   in Loop: Header=BB12_519 Depth=2
	s_or_b64 exec, exec, s[20:21]
	v_and_b32_e32 v2, 0xffff0000, v2
	v_and_b32_e32 v6, 0xffff0000, v6
	v_pk_mul_f32 v[14:15], v[2:3], v[6:7] op_sel_hi:[0,1]
	v_and_b32_e32 v2, 0x7f800000, v14
	v_cmp_ne_u32_e32 vcc, s72, v2
                                        ; implicit-def: $vgpr23
	s_and_saveexec_b64 s[20:21], vcc
	s_xor_b64 s[20:21], exec, s[20:21]
; %bb.563:                              ;   in Loop: Header=BB12_519 Depth=2
	v_bfe_u32 v2, v14, 16, 1
	v_add3_u32 v23, v14, v2, s73
                                        ; implicit-def: $vgpr14_vgpr15
; %bb.564:                              ;   in Loop: Header=BB12_519 Depth=2
	s_andn2_saveexec_b64 s[20:21], s[20:21]
; %bb.565:                              ;   in Loop: Header=BB12_519 Depth=2
	v_or_b32_e32 v2, 0x10000, v14
	v_cmp_eq_u32_sdwa vcc, v14, v31 src0_sel:WORD_0 src1_sel:DWORD
	s_nop 1
	v_cndmask_b32_e32 v23, v2, v14, vcc
; %bb.566:                              ;   in Loop: Header=BB12_519 Depth=2
	s_or_b64 exec, exec, s[20:21]
	v_lshlrev_b32_e32 v2, 16, v3
	v_lshlrev_b32_e32 v6, 16, v7
	v_pk_mul_f32 v[14:15], v[2:3], v[6:7] op_sel_hi:[0,1]
	v_and_b32_e32 v2, 0x7f800000, v14
	v_cmp_ne_u32_e32 vcc, s72, v2
                                        ; implicit-def: $vgpr24
	s_and_saveexec_b64 s[20:21], vcc
	s_xor_b64 s[20:21], exec, s[20:21]
; %bb.567:                              ;   in Loop: Header=BB12_519 Depth=2
	v_bfe_u32 v2, v14, 16, 1
	v_add3_u32 v24, v14, v2, s73
                                        ; implicit-def: $vgpr14_vgpr15
; %bb.568:                              ;   in Loop: Header=BB12_519 Depth=2
	s_andn2_saveexec_b64 s[20:21], s[20:21]
; %bb.569:                              ;   in Loop: Header=BB12_519 Depth=2
	v_or_b32_e32 v2, 0x10000, v14
	v_cmp_eq_u32_sdwa vcc, v14, v31 src0_sel:WORD_0 src1_sel:DWORD
	s_nop 1
	v_cndmask_b32_e32 v24, v2, v14, vcc
; %bb.570:                              ;   in Loop: Header=BB12_519 Depth=2
	s_or_b64 exec, exec, s[20:21]
	v_and_b32_e32 v2, 0xffff0000, v3
	v_and_b32_e32 v6, 0xffff0000, v7
	v_pk_mul_f32 v[2:3], v[2:3], v[6:7] op_sel_hi:[0,1]
	v_and_b32_e32 v3, 0x7f800000, v2
	v_cmp_ne_u32_e32 vcc, s72, v3
                                        ; implicit-def: $vgpr14
	s_and_saveexec_b64 s[20:21], vcc
	s_xor_b64 s[20:21], exec, s[20:21]
; %bb.571:                              ;   in Loop: Header=BB12_519 Depth=2
	v_bfe_u32 v3, v2, 16, 1
	v_add3_u32 v14, v2, v3, s73
                                        ; implicit-def: $vgpr2_vgpr3
; %bb.572:                              ;   in Loop: Header=BB12_519 Depth=2
	s_andn2_saveexec_b64 s[20:21], s[20:21]
; %bb.573:                              ;   in Loop: Header=BB12_519 Depth=2
	v_or_b32_e32 v3, 0x10000, v2
	v_cmp_eq_u32_sdwa vcc, v2, v31 src0_sel:WORD_0 src1_sel:DWORD
	s_nop 1
	v_cndmask_b32_e32 v14, v3, v2, vcc
; %bb.574:                              ;   in Loop: Header=BB12_519 Depth=2
	s_or_b64 exec, exec, s[20:21]
	v_lshlrev_b32_e32 v2, 16, v4
	v_lshlrev_b32_e32 v6, 16, v8
	v_pk_mul_f32 v[2:3], v[2:3], v[6:7] op_sel_hi:[0,1]
	v_and_b32_e32 v3, 0x7f800000, v2
	v_cmp_ne_u32_e32 vcc, s72, v3
                                        ; implicit-def: $vgpr15
	s_and_saveexec_b64 s[20:21], vcc
	s_xor_b64 s[20:21], exec, s[20:21]
; %bb.575:                              ;   in Loop: Header=BB12_519 Depth=2
	v_bfe_u32 v3, v2, 16, 1
	v_add3_u32 v15, v2, v3, s73
                                        ; implicit-def: $vgpr2_vgpr3
; %bb.576:                              ;   in Loop: Header=BB12_519 Depth=2
	s_andn2_saveexec_b64 s[20:21], s[20:21]
; %bb.577:                              ;   in Loop: Header=BB12_519 Depth=2
	v_or_b32_e32 v3, 0x10000, v2
	v_cmp_eq_u32_sdwa vcc, v2, v31 src0_sel:WORD_0 src1_sel:DWORD
	s_nop 1
	v_cndmask_b32_e32 v15, v3, v2, vcc
; %bb.578:                              ;   in Loop: Header=BB12_519 Depth=2
	s_or_b64 exec, exec, s[20:21]
	v_and_b32_e32 v2, 0xffff0000, v4
	v_and_b32_e32 v4, 0xffff0000, v8
	v_pk_mul_f32 v[2:3], v[2:3], v[4:5] op_sel_hi:[0,1]
	v_and_b32_e32 v3, 0x7f800000, v2
	v_cmp_ne_u32_e32 vcc, s72, v3
                                        ; implicit-def: $vgpr4
	s_and_saveexec_b64 s[20:21], vcc
	s_xor_b64 s[20:21], exec, s[20:21]
; %bb.579:                              ;   in Loop: Header=BB12_519 Depth=2
	v_bfe_u32 v3, v2, 16, 1
	v_add3_u32 v4, v2, v3, s73
                                        ; implicit-def: $vgpr2_vgpr3
; %bb.580:                              ;   in Loop: Header=BB12_519 Depth=2
	s_andn2_saveexec_b64 s[20:21], s[20:21]
; %bb.581:                              ;   in Loop: Header=BB12_519 Depth=2
	v_or_b32_e32 v3, 0x10000, v2
	v_cmp_eq_u32_sdwa vcc, v2, v31 src0_sel:WORD_0 src1_sel:DWORD
	s_nop 1
	v_cndmask_b32_e32 v4, v3, v2, vcc
; %bb.582:                              ;   in Loop: Header=BB12_519 Depth=2
	s_or_b64 exec, exec, s[20:21]
	v_mov_b32_e32 v3, v9
	v_lshlrev_b32_e32 v2, 16, v5
	v_lshlrev_b32_e32 v6, 16, v3
	v_pk_mul_f32 v[6:7], v[2:3], v[6:7] op_sel_hi:[0,1]
	v_and_b32_e32 v2, 0x7f800000, v6
	v_cmp_ne_u32_e32 vcc, s72, v2
                                        ; implicit-def: $vgpr8
	s_and_saveexec_b64 s[20:21], vcc
	s_xor_b64 s[20:21], exec, s[20:21]
; %bb.583:                              ;   in Loop: Header=BB12_519 Depth=2
	v_bfe_u32 v2, v6, 16, 1
	v_add3_u32 v8, v6, v2, s73
                                        ; implicit-def: $vgpr6_vgpr7
; %bb.584:                              ;   in Loop: Header=BB12_519 Depth=2
	s_andn2_saveexec_b64 s[20:21], s[20:21]
; %bb.585:                              ;   in Loop: Header=BB12_519 Depth=2
	v_or_b32_e32 v2, 0x10000, v6
	v_cmp_eq_u32_sdwa vcc, v6, v31 src0_sel:WORD_0 src1_sel:DWORD
	s_nop 1
	v_cndmask_b32_e32 v8, v2, v6, vcc
; %bb.586:                              ;   in Loop: Header=BB12_519 Depth=2
	s_or_b64 exec, exec, s[20:21]
	v_and_b32_e32 v2, 0xffff0000, v5
	v_and_b32_e32 v6, 0xffff0000, v3
	v_pk_mul_f32 v[2:3], v[2:3], v[6:7] op_sel_hi:[0,1]
	v_and_b32_e32 v3, 0x7f800000, v2
	v_cmp_ne_u32_e32 vcc, s72, v3
                                        ; implicit-def: $vgpr5
	s_and_saveexec_b64 s[20:21], vcc
	s_xor_b64 s[20:21], exec, s[20:21]
; %bb.587:                              ;   in Loop: Header=BB12_519 Depth=2
	v_bfe_u32 v3, v2, 16, 1
	v_add3_u32 v5, v2, v3, s73
                                        ; implicit-def: $vgpr2_vgpr3
; %bb.588:                              ;   in Loop: Header=BB12_519 Depth=2
	s_andn2_saveexec_b64 s[20:21], s[20:21]
; %bb.589:                              ;   in Loop: Header=BB12_519 Depth=2
	v_or_b32_e32 v3, 0x10000, v2
	v_cmp_eq_u32_sdwa vcc, v2, v31 src0_sel:WORD_0 src1_sel:DWORD
	s_nop 1
	v_cndmask_b32_e32 v5, v3, v2, vcc
; %bb.590:                              ;   in Loop: Header=BB12_519 Depth=2
	s_or_b64 exec, exec, s[20:21]
	v_accvgpr_read_b32 v2, a2
	v_accvgpr_read_b32 v3, a3
	v_sub_u32_e32 v20, v20, v2
	v_lshrrev_b32_e32 v2, 16, v24
	v_lshrrev_b32_e32 v6, 16, v15
	v_and_or_b32 v3, v14, s74, v2
	v_lshrrev_b32_e32 v2, 16, v22
	v_and_or_b32 v4, v4, s74, v6
	;; [unrolled: 2-line block ×3, first 2 shown]
	v_and_or_b32 v5, v5, s74, v6
	scratch_store_dwordx4 off, v[2:5], s33 offset:192
	global_store_dwordx4 v[0:1], v[2:5], off nt
	v_lshl_add_u64 v[0:1], v[0:1], 0, s[38:39]
	s_and_saveexec_b64 s[20:21], s[60:61]
	s_cbranch_execz .LBB12_518
; %bb.591:                              ;   in Loop: Header=BB12_519 Depth=2
	v_accvgpr_read_b32 v2, a2
	v_lshl_add_u64 v[10:11], v[10:11], 0, v[26:27]
	v_lshl_add_u64 v[12:13], v[12:13], 0, v[26:27]
	;; [unrolled: 1-line block ×3, first 2 shown]
	v_sub_u32_e32 v21, v21, v53
	v_sub_u32_e32 v20, v20, v2
	v_accvgpr_read_b32 v3, a3
	s_branch .LBB12_518
.LBB12_592:                             ;   in Loop: Header=BB12_49 Depth=1
	s_or_b64 exec, exec, s[56:57]
	s_and_b64 s[22:23], s[58:59], exec
.LBB12_593:                             ;   in Loop: Header=BB12_49 Depth=1
	s_or_b64 exec, exec, s[54:55]
	s_and_saveexec_b64 s[20:21], s[22:23]
	s_cbranch_execz .LBB12_627
; %bb.594:                              ;   in Loop: Header=BB12_49 Depth=1
	scratch_load_dwordx4 v[2:5], off, s33 offset:240
	scratch_load_dwordx4 v[6:9], off, s33 offset:224
	s_waitcnt vmcnt(1)
	v_lshlrev_b32_e32 v10, 16, v2
	s_waitcnt vmcnt(0)
	v_lshlrev_b32_e32 v12, 16, v6
	v_pk_mul_f32 v[10:11], v[10:11], v[12:13] op_sel_hi:[0,1]
	v_and_b32_e32 v11, 0x7f800000, v10
	v_cmp_ne_u32_e32 vcc, s72, v11
                                        ; implicit-def: $vgpr12
	s_and_saveexec_b64 s[22:23], vcc
	s_xor_b64 s[22:23], exec, s[22:23]
; %bb.595:                              ;   in Loop: Header=BB12_49 Depth=1
	v_bfe_u32 v11, v10, 16, 1
	v_add3_u32 v12, v10, v11, s73
                                        ; implicit-def: $vgpr10_vgpr11
; %bb.596:                              ;   in Loop: Header=BB12_49 Depth=1
	s_andn2_saveexec_b64 s[22:23], s[22:23]
; %bb.597:                              ;   in Loop: Header=BB12_49 Depth=1
	v_or_b32_e32 v11, 0x10000, v10
	v_cmp_eq_u32_sdwa vcc, v10, v31 src0_sel:WORD_0 src1_sel:DWORD
	s_nop 1
	v_cndmask_b32_e32 v12, v11, v10, vcc
; %bb.598:                              ;   in Loop: Header=BB12_49 Depth=1
	s_or_b64 exec, exec, s[22:23]
	v_and_b32_e32 v2, 0xffff0000, v2
	v_and_b32_e32 v6, 0xffff0000, v6
	v_pk_mul_f32 v[10:11], v[2:3], v[6:7] op_sel_hi:[0,1]
	v_and_b32_e32 v2, 0x7f800000, v10
	v_cmp_ne_u32_e32 vcc, s72, v2
                                        ; implicit-def: $vgpr13
	s_and_saveexec_b64 s[22:23], vcc
	s_xor_b64 s[22:23], exec, s[22:23]
; %bb.599:                              ;   in Loop: Header=BB12_49 Depth=1
	v_bfe_u32 v2, v10, 16, 1
	v_add3_u32 v13, v10, v2, s73
                                        ; implicit-def: $vgpr10_vgpr11
; %bb.600:                              ;   in Loop: Header=BB12_49 Depth=1
	s_andn2_saveexec_b64 s[22:23], s[22:23]
; %bb.601:                              ;   in Loop: Header=BB12_49 Depth=1
	v_or_b32_e32 v2, 0x10000, v10
	v_cmp_eq_u32_sdwa vcc, v10, v31 src0_sel:WORD_0 src1_sel:DWORD
	s_nop 1
	v_cndmask_b32_e32 v13, v2, v10, vcc
; %bb.602:                              ;   in Loop: Header=BB12_49 Depth=1
	s_or_b64 exec, exec, s[22:23]
	v_lshlrev_b32_e32 v2, 16, v3
	v_lshlrev_b32_e32 v6, 16, v7
	v_pk_mul_f32 v[10:11], v[2:3], v[6:7] op_sel_hi:[0,1]
	v_and_b32_e32 v2, 0x7f800000, v10
	v_cmp_ne_u32_e32 vcc, s72, v2
                                        ; implicit-def: $vgpr14
	s_and_saveexec_b64 s[22:23], vcc
	s_xor_b64 s[22:23], exec, s[22:23]
; %bb.603:                              ;   in Loop: Header=BB12_49 Depth=1
	v_bfe_u32 v2, v10, 16, 1
	v_add3_u32 v14, v10, v2, s73
                                        ; implicit-def: $vgpr10_vgpr11
; %bb.604:                              ;   in Loop: Header=BB12_49 Depth=1
	s_andn2_saveexec_b64 s[22:23], s[22:23]
; %bb.605:                              ;   in Loop: Header=BB12_49 Depth=1
	v_or_b32_e32 v2, 0x10000, v10
	v_cmp_eq_u32_sdwa vcc, v10, v31 src0_sel:WORD_0 src1_sel:DWORD
	s_nop 1
	v_cndmask_b32_e32 v14, v2, v10, vcc
; %bb.606:                              ;   in Loop: Header=BB12_49 Depth=1
	s_or_b64 exec, exec, s[22:23]
	v_and_b32_e32 v2, 0xffff0000, v3
	v_and_b32_e32 v6, 0xffff0000, v7
	v_pk_mul_f32 v[2:3], v[2:3], v[6:7] op_sel_hi:[0,1]
	v_and_b32_e32 v3, 0x7f800000, v2
	v_cmp_ne_u32_e32 vcc, s72, v3
                                        ; implicit-def: $vgpr10
	s_and_saveexec_b64 s[22:23], vcc
	s_xor_b64 s[22:23], exec, s[22:23]
; %bb.607:                              ;   in Loop: Header=BB12_49 Depth=1
	v_bfe_u32 v3, v2, 16, 1
	v_add3_u32 v10, v2, v3, s73
                                        ; implicit-def: $vgpr2_vgpr3
; %bb.608:                              ;   in Loop: Header=BB12_49 Depth=1
	s_andn2_saveexec_b64 s[22:23], s[22:23]
; %bb.609:                              ;   in Loop: Header=BB12_49 Depth=1
	v_or_b32_e32 v3, 0x10000, v2
	v_cmp_eq_u32_sdwa vcc, v2, v31 src0_sel:WORD_0 src1_sel:DWORD
	s_nop 1
	v_cndmask_b32_e32 v10, v3, v2, vcc
; %bb.610:                              ;   in Loop: Header=BB12_49 Depth=1
	s_or_b64 exec, exec, s[22:23]
	v_lshlrev_b32_e32 v2, 16, v4
	v_lshlrev_b32_e32 v6, 16, v8
	v_pk_mul_f32 v[2:3], v[2:3], v[6:7] op_sel_hi:[0,1]
	v_and_b32_e32 v3, 0x7f800000, v2
	v_cmp_ne_u32_e32 vcc, s72, v3
                                        ; implicit-def: $vgpr11
	s_and_saveexec_b64 s[22:23], vcc
	s_xor_b64 s[22:23], exec, s[22:23]
; %bb.611:                              ;   in Loop: Header=BB12_49 Depth=1
	v_bfe_u32 v3, v2, 16, 1
	v_add3_u32 v11, v2, v3, s73
                                        ; implicit-def: $vgpr2_vgpr3
; %bb.612:                              ;   in Loop: Header=BB12_49 Depth=1
	s_andn2_saveexec_b64 s[22:23], s[22:23]
; %bb.613:                              ;   in Loop: Header=BB12_49 Depth=1
	v_or_b32_e32 v3, 0x10000, v2
	v_cmp_eq_u32_sdwa vcc, v2, v31 src0_sel:WORD_0 src1_sel:DWORD
	s_nop 1
	v_cndmask_b32_e32 v11, v3, v2, vcc
; %bb.614:                              ;   in Loop: Header=BB12_49 Depth=1
	s_or_b64 exec, exec, s[22:23]
	v_and_b32_e32 v2, 0xffff0000, v4
	v_and_b32_e32 v4, 0xffff0000, v8
	v_pk_mul_f32 v[2:3], v[2:3], v[4:5] op_sel_hi:[0,1]
	v_and_b32_e32 v3, 0x7f800000, v2
	v_cmp_ne_u32_e32 vcc, s72, v3
                                        ; implicit-def: $vgpr4
	s_and_saveexec_b64 s[22:23], vcc
	s_xor_b64 s[22:23], exec, s[22:23]
; %bb.615:                              ;   in Loop: Header=BB12_49 Depth=1
	v_bfe_u32 v3, v2, 16, 1
	v_add3_u32 v4, v2, v3, s73
                                        ; implicit-def: $vgpr2_vgpr3
; %bb.616:                              ;   in Loop: Header=BB12_49 Depth=1
	s_andn2_saveexec_b64 s[22:23], s[22:23]
; %bb.617:                              ;   in Loop: Header=BB12_49 Depth=1
	v_or_b32_e32 v3, 0x10000, v2
	v_cmp_eq_u32_sdwa vcc, v2, v31 src0_sel:WORD_0 src1_sel:DWORD
	s_nop 1
	v_cndmask_b32_e32 v4, v3, v2, vcc
; %bb.618:                              ;   in Loop: Header=BB12_49 Depth=1
	s_or_b64 exec, exec, s[22:23]
	v_mov_b32_e32 v3, v9
	v_lshlrev_b32_e32 v2, 16, v5
	v_lshlrev_b32_e32 v6, 16, v3
	v_pk_mul_f32 v[6:7], v[2:3], v[6:7] op_sel_hi:[0,1]
	v_and_b32_e32 v2, 0x7f800000, v6
	v_cmp_ne_u32_e32 vcc, s72, v2
                                        ; implicit-def: $vgpr8
	s_and_saveexec_b64 s[22:23], vcc
	s_xor_b64 s[22:23], exec, s[22:23]
; %bb.619:                              ;   in Loop: Header=BB12_49 Depth=1
	v_bfe_u32 v2, v6, 16, 1
	v_add3_u32 v8, v6, v2, s73
                                        ; implicit-def: $vgpr6_vgpr7
; %bb.620:                              ;   in Loop: Header=BB12_49 Depth=1
	s_andn2_saveexec_b64 s[22:23], s[22:23]
; %bb.621:                              ;   in Loop: Header=BB12_49 Depth=1
	v_or_b32_e32 v2, 0x10000, v6
	v_cmp_eq_u32_sdwa vcc, v6, v31 src0_sel:WORD_0 src1_sel:DWORD
	s_nop 1
	v_cndmask_b32_e32 v8, v2, v6, vcc
; %bb.622:                              ;   in Loop: Header=BB12_49 Depth=1
	s_or_b64 exec, exec, s[22:23]
	v_and_b32_e32 v2, 0xffff0000, v5
	v_and_b32_e32 v6, 0xffff0000, v3
	v_pk_mul_f32 v[2:3], v[2:3], v[6:7] op_sel_hi:[0,1]
	v_and_b32_e32 v3, 0x7f800000, v2
	v_cmp_ne_u32_e32 vcc, s72, v3
                                        ; implicit-def: $vgpr5
	s_and_saveexec_b64 s[22:23], vcc
	s_xor_b64 s[22:23], exec, s[22:23]
; %bb.623:                              ;   in Loop: Header=BB12_49 Depth=1
	v_bfe_u32 v3, v2, 16, 1
	v_add3_u32 v5, v2, v3, s73
                                        ; implicit-def: $vgpr2_vgpr3
; %bb.624:                              ;   in Loop: Header=BB12_49 Depth=1
	s_andn2_saveexec_b64 s[22:23], s[22:23]
; %bb.625:                              ;   in Loop: Header=BB12_49 Depth=1
	v_or_b32_e32 v3, 0x10000, v2
	v_cmp_eq_u32_sdwa vcc, v2, v31 src0_sel:WORD_0 src1_sel:DWORD
	s_nop 1
	v_cndmask_b32_e32 v5, v3, v2, vcc
; %bb.626:                              ;   in Loop: Header=BB12_49 Depth=1
	s_or_b64 exec, exec, s[22:23]
	v_lshrrev_b32_e32 v2, 16, v14
	v_lshrrev_b32_e32 v6, 16, v11
	v_and_or_b32 v3, v10, s74, v2
	v_lshrrev_b32_e32 v2, 16, v12
	v_and_or_b32 v4, v4, s74, v6
	;; [unrolled: 2-line block ×3, first 2 shown]
	v_and_or_b32 v5, v5, s74, v6
	global_store_dwordx4 v[0:1], v[2:5], off nt
.LBB12_627:                             ;   in Loop: Header=BB12_49 Depth=1
	s_or_b64 exec, exec, s[20:21]
	v_and_b32_e32 v1, 14, v45
	v_cndmask_b32_e64 v45, v19, v1, s[18:19]
	v_cmp_ne_u32_e32 vcc, 0, v45
	s_mov_b64 s[20:21], 0
	v_mov_b32_e32 v3, 0
                                        ; implicit-def: $vgpr2
                                        ; implicit-def: $vgpr0
                                        ; implicit-def: $vgpr4_vgpr5
                                        ; kill: killed $vgpr4_vgpr5
	s_and_saveexec_b64 s[22:23], vcc
	s_cbranch_execz .LBB12_629
; %bb.628:                              ;   in Loop: Header=BB12_49 Depth=1
	v_sub_u32_e32 v0, v19, v1
	v_cndmask_b32_e64 v0, 0, v0, s[18:19]
	v_add3_u32 v3, v18, v16, v0
	v_cmp_lt_i32_e32 vcc, 0, v20
	v_accvgpr_read_b32 v0, a2
	v_accvgpr_read_b32 v1, a3
	v_cndmask_b32_e32 v0, 0, v0, vcc
	v_sub_u32_e32 v0, v0, v20
	v_lshl_add_u32 v1, v0, 6, v17
	v_ashrrev_i32_e32 v0, 31, v1
	v_lshrrev_b32_e32 v0, 26, v0
	s_trap 2
	ds_read_b64 v[4:5], v0
	v_add_u32_e32 v2, v1, v0
	v_ashrrev_i32_e32 v0, 6, v2
	v_and_b32_e32 v2, 0xffffffc0, v2
	s_mov_b64 s[20:21], exec
	v_sub_u32_e32 v2, v1, v2
	s_waitcnt lgkmcnt(0)
	scratch_store_dwordx2 off, v[4:5], s33 offset:308 ; 8-byte Folded Spill
.LBB12_629:                             ;   in Loop: Header=BB12_49 Depth=1
	s_or_b64 exec, exec, s[22:23]
	s_and_b64 s[18:19], s[20:21], exec
.LBB12_630:                             ;   in Loop: Header=BB12_49 Depth=1
	s_or_b64 exec, exec, s[52:53]
	scratch_load_dwordx2 v[8:9], off, s33 offset:308 ; 8-byte Folded Reload
	s_and_saveexec_b64 s[22:23], s[18:19]
	s_cbranch_execz .LBB12_859
.LBB12_631:                             ;   in Loop: Header=BB12_49 Depth=1
	v_lshlrev_b32_e32 v1, 11, v0
	v_accvgpr_write_b32 a4, v2
	v_lshlrev_b32_e32 v2, 1, v2
	v_add3_u32 v4, v3, v2, v1
	v_ashrrev_i32_e32 v1, 31, v45
	v_lshrrev_b32_e32 v1, 21, v1
	v_add_u32_e32 v1, v45, v1
	v_ashrrev_i32_e32 v1, 11, v1
	v_ashrrev_i32_e32 v5, 31, v4
	v_sub_u32_e32 v6, v1, v0
	s_waitcnt vmcnt(0) lgkmcnt(0)
	v_accvgpr_write_b32 a63, v9
	v_accvgpr_write_b32 a0, v3
	;; [unrolled: 1-line block ×4, first 2 shown]
	v_lshl_add_u64 v[0:1], v[8:9], 0, v[4:5]
	v_cmp_lt_i32_e32 vcc, 0, v6
	s_mov_b64 s[20:21], 0
                                        ; implicit-def: $vgpr58
                                        ; implicit-def: $vgpr46
                                        ; implicit-def: $vgpr41
                                        ; implicit-def: $vgpr52
                                        ; implicit-def: $vgpr39
                                        ; implicit-def: $vgpr38
                                        ; implicit-def: $vgpr37
                                        ; implicit-def: $vgpr36
                                        ; implicit-def: $vgpr34
                                        ; implicit-def: $vgpr30
                                        ; implicit-def: $vgpr27
                                        ; implicit-def: $vgpr24
                                        ; implicit-def: $vgpr20
                                        ; implicit-def: $vgpr17
                                        ; implicit-def: $vgpr14
                                        ; implicit-def: $vgpr12
                                        ; implicit-def: $vgpr35
                                        ; implicit-def: $vgpr33
                                        ; implicit-def: $vgpr32
                                        ; implicit-def: $vgpr26
                                        ; implicit-def: $agpr44
                                        ; implicit-def: $agpr43
                                        ; implicit-def: $agpr42
                                        ; implicit-def: $agpr31
                                        ; implicit-def: $agpr23
                                        ; implicit-def: $agpr22
                                        ; implicit-def: $agpr21
                                        ; implicit-def: $agpr20
                                        ; implicit-def: $agpr14
                                        ; implicit-def: $agpr12
                                        ; implicit-def: $agpr7
                                        ; implicit-def: $agpr6
	s_and_saveexec_b64 s[18:19], vcc
	s_cbranch_execz .LBB12_767
; %bb.632:                              ;   in Loop: Header=BB12_49 Depth=1
	s_trap 2
	ds_read_b128 v[8:11], v0
	v_accvgpr_write_b32 a57, v43
	v_accvgpr_write_b32 a61, v45
	;; [unrolled: 1-line block ×6, first 2 shown]
	s_mov_b64 s[54:55], 0
	s_waitcnt lgkmcnt(0)
	v_lshl_add_u64 v[2:3], v[8:9], 0, v[4:5]
	v_lshl_add_u64 v[4:5], v[10:11], 0, v[4:5]
                                        ; implicit-def: $sgpr52_sgpr53
                                        ; implicit-def: $vgpr58
                                        ; implicit-def: $vgpr46
                                        ; implicit-def: $vgpr41
                                        ; implicit-def: $vgpr52
                                        ; implicit-def: $vgpr39
                                        ; implicit-def: $vgpr38
                                        ; implicit-def: $vgpr37
                                        ; implicit-def: $vgpr36
                                        ; implicit-def: $vgpr34
                                        ; implicit-def: $vgpr30
                                        ; implicit-def: $vgpr27
                                        ; implicit-def: $vgpr24
                                        ; implicit-def: $vgpr20
                                        ; implicit-def: $vgpr17
                                        ; implicit-def: $vgpr14
                                        ; implicit-def: $vgpr12
                                        ; implicit-def: $vgpr35
                                        ; implicit-def: $vgpr33
                                        ; implicit-def: $vgpr32
                                        ; implicit-def: $vgpr26
                                        ; implicit-def: $agpr44
                                        ; implicit-def: $agpr43
                                        ; implicit-def: $agpr42
                                        ; implicit-def: $agpr31
                                        ; implicit-def: $agpr23
                                        ; implicit-def: $agpr22
                                        ; implicit-def: $agpr21
                                        ; implicit-def: $agpr20
                                        ; implicit-def: $agpr14
                                        ; implicit-def: $agpr12
                                        ; implicit-def: $agpr7
                                        ; implicit-def: $agpr6
	s_branch .LBB12_634
.LBB12_633:                             ;   in Loop: Header=BB12_634 Depth=2
	s_or_b64 exec, exec, s[56:57]
	flat_store_short_d16_hi v[0:1], v23 nt
	flat_store_short_d16_hi v[0:1], v21 offset:128 nt
	flat_store_short_d16_hi v[0:1], v18 offset:256 nt
	;; [unrolled: 1-line block ×15, first 2 shown]
	v_accvgpr_read_b32 v8, a48
	v_accvgpr_read_b32 v9, a49
	v_lshl_add_u64 v[6:7], v[2:3], 0, v[8:9]
	v_cndmask_b32_e64 v3, v3, v7, s[54:55]
	v_cndmask_b32_e64 v2, v2, v6, s[54:55]
	v_accvgpr_read_b32 v7, a3
	v_accvgpr_read_b32 v6, a2
	v_cndmask_b32_e64 v6, 0, v6, s[54:55]
	v_sub_u32_e32 v6, v25, v6
	v_accvgpr_read_b32 v10, a50
	v_cmp_gt_i32_e32 vcc, 1, v6
	v_accvgpr_read_b32 v11, a51
	v_mov_b32_e32 v13, 0x800
	s_or_b64 s[20:21], vcc, s[20:21]
	v_lshl_add_u64 v[8:9], v[4:5], 0, v[8:9]
	v_cndmask_b32_e64 v11, 0, v11, s[54:55]
	v_cndmask_b32_e64 v10, v13, v10, s[54:55]
	s_andn2_b64 vcc, s[52:53], exec
	s_and_b64 s[52:53], s[54:55], exec
	v_lshl_add_u64 v[0:1], v[0:1], 0, v[10:11]
	v_cndmask_b32_e64 v5, v5, v9, s[54:55]
	v_cndmask_b32_e64 v4, v4, v8, s[54:55]
	s_or_b64 s[52:53], vcc, s[52:53]
	s_andn2_b64 exec, exec, s[20:21]
	s_cbranch_execz .LBB12_766
.LBB12_634:                             ;   Parent Loop BB12_49 Depth=1
                                        ; =>  This Inner Loop Header: Depth=2
	flat_load_ushort v7, v[2:3] nt
	flat_load_ushort v21, v[2:3] offset:128 nt
	flat_load_ushort v18, v[2:3] offset:256 nt
	;; [unrolled: 1-line block ×15, first 2 shown]
	flat_load_ushort v23, v[4:5] nt
	flat_load_ushort v22, v[4:5] offset:128 nt
	flat_load_ushort v19, v[4:5] offset:256 nt
	;; [unrolled: 1-line block ×15, first 2 shown]
	s_and_saveexec_b64 s[56:57], s[54:55]
	s_cbranch_execz .LBB12_700
; %bb.635:                              ;   in Loop: Header=BB12_634 Depth=2
	v_lshlrev_b32_e32 v25, 16, v58
	v_lshlrev_b32_e32 v28, 16, v35
	v_mul_f32_e32 v58, v25, v28
	v_and_b32_e32 v25, 0x7f800000, v58
	v_cmp_ne_u32_e32 vcc, s72, v25
                                        ; implicit-def: $vgpr25
	s_and_saveexec_b64 s[54:55], vcc
	s_xor_b64 vcc, exec, s[54:55]
; %bb.636:                              ;   in Loop: Header=BB12_634 Depth=2
	v_bfe_u32 v25, v58, 16, 1
	v_add3_u32 v25, v58, v25, s73
                                        ; implicit-def: $vgpr58
; %bb.637:                              ;   in Loop: Header=BB12_634 Depth=2
	s_andn2_saveexec_b64 s[54:55], vcc
; %bb.638:                              ;   in Loop: Header=BB12_634 Depth=2
	v_or_b32_e32 v25, 0x10000, v58
	v_cmp_eq_u32_sdwa vcc, v58, v31 src0_sel:WORD_0 src1_sel:DWORD
	s_nop 1
	v_cndmask_b32_e32 v25, v25, v58, vcc
; %bb.639:                              ;   in Loop: Header=BB12_634 Depth=2
	s_or_b64 exec, exec, s[54:55]
	v_lshlrev_b32_e32 v28, 16, v46
	v_lshlrev_b32_e32 v46, 16, v33
	v_mul_f32_e32 v58, v28, v46
	v_and_b32_e32 v28, 0x7f800000, v58
	v_cmp_ne_u32_e32 vcc, s72, v28
                                        ; implicit-def: $vgpr46
	s_and_saveexec_b64 s[54:55], vcc
	s_xor_b64 vcc, exec, s[54:55]
; %bb.640:                              ;   in Loop: Header=BB12_634 Depth=2
	v_bfe_u32 v28, v58, 16, 1
	v_add3_u32 v46, v58, v28, s73
                                        ; implicit-def: $vgpr58
; %bb.641:                              ;   in Loop: Header=BB12_634 Depth=2
	s_andn2_saveexec_b64 s[54:55], vcc
; %bb.642:                              ;   in Loop: Header=BB12_634 Depth=2
	v_or_b32_e32 v28, 0x10000, v58
	v_cmp_eq_u32_sdwa vcc, v58, v31 src0_sel:WORD_0 src1_sel:DWORD
	s_nop 1
	v_cndmask_b32_e32 v46, v28, v58, vcc
; %bb.643:                              ;   in Loop: Header=BB12_634 Depth=2
	s_or_b64 exec, exec, s[54:55]
	v_lshlrev_b32_e32 v28, 16, v41
	v_lshlrev_b32_e32 v41, 16, v32
	v_mul_f32_e32 v58, v28, v41
	v_and_b32_e32 v28, 0x7f800000, v58
	v_cmp_ne_u32_e32 vcc, s72, v28
                                        ; implicit-def: $vgpr41
	s_and_saveexec_b64 s[54:55], vcc
	s_xor_b64 vcc, exec, s[54:55]
; %bb.644:                              ;   in Loop: Header=BB12_634 Depth=2
	v_bfe_u32 v28, v58, 16, 1
	v_add3_u32 v41, v58, v28, s73
                                        ; implicit-def: $vgpr58
; %bb.645:                              ;   in Loop: Header=BB12_634 Depth=2
	s_andn2_saveexec_b64 s[54:55], vcc
; %bb.646:                              ;   in Loop: Header=BB12_634 Depth=2
	v_or_b32_e32 v28, 0x10000, v58
	v_cmp_eq_u32_sdwa vcc, v58, v31 src0_sel:WORD_0 src1_sel:DWORD
	s_nop 1
	v_cndmask_b32_e32 v41, v28, v58, vcc
; %bb.647:                              ;   in Loop: Header=BB12_634 Depth=2
	s_or_b64 exec, exec, s[54:55]
	v_lshlrev_b32_e32 v28, 16, v52
	v_lshlrev_b32_e32 v52, 16, v26
	v_mul_f32_e32 v58, v28, v52
	v_and_b32_e32 v28, 0x7f800000, v58
	v_cmp_ne_u32_e32 vcc, s72, v28
                                        ; implicit-def: $vgpr52
	s_and_saveexec_b64 s[54:55], vcc
	s_xor_b64 vcc, exec, s[54:55]
; %bb.648:                              ;   in Loop: Header=BB12_634 Depth=2
	v_bfe_u32 v28, v58, 16, 1
	v_add3_u32 v52, v58, v28, s73
                                        ; implicit-def: $vgpr58
; %bb.649:                              ;   in Loop: Header=BB12_634 Depth=2
	s_andn2_saveexec_b64 s[54:55], vcc
; %bb.650:                              ;   in Loop: Header=BB12_634 Depth=2
	v_or_b32_e32 v28, 0x10000, v58
	v_cmp_eq_u32_sdwa vcc, v58, v31 src0_sel:WORD_0 src1_sel:DWORD
	s_nop 1
	v_cndmask_b32_e32 v52, v28, v58, vcc
; %bb.651:                              ;   in Loop: Header=BB12_634 Depth=2
	s_or_b64 exec, exec, s[54:55]
	v_accvgpr_read_b32 v29, a44
	v_lshlrev_b32_e32 v28, 16, v39
	v_lshlrev_b32_e32 v39, 16, v29
	v_mul_f32_e32 v58, v28, v39
	v_and_b32_e32 v28, 0x7f800000, v58
	v_cmp_ne_u32_e32 vcc, s72, v28
                                        ; implicit-def: $vgpr39
	s_and_saveexec_b64 s[54:55], vcc
	s_xor_b64 vcc, exec, s[54:55]
; %bb.652:                              ;   in Loop: Header=BB12_634 Depth=2
	v_bfe_u32 v28, v58, 16, 1
	v_add3_u32 v39, v58, v28, s73
                                        ; implicit-def: $vgpr58
; %bb.653:                              ;   in Loop: Header=BB12_634 Depth=2
	s_andn2_saveexec_b64 s[54:55], vcc
; %bb.654:                              ;   in Loop: Header=BB12_634 Depth=2
	v_or_b32_e32 v28, 0x10000, v58
	v_cmp_eq_u32_sdwa vcc, v58, v31 src0_sel:WORD_0 src1_sel:DWORD
	s_nop 1
	v_cndmask_b32_e32 v39, v28, v58, vcc
; %bb.655:                              ;   in Loop: Header=BB12_634 Depth=2
	s_or_b64 exec, exec, s[54:55]
	v_accvgpr_read_b32 v29, a43
	v_lshlrev_b32_e32 v28, 16, v38
	v_lshlrev_b32_e32 v38, 16, v29
	v_mul_f32_e32 v58, v28, v38
	v_and_b32_e32 v28, 0x7f800000, v58
	v_cmp_ne_u32_e32 vcc, s72, v28
                                        ; implicit-def: $vgpr38
	s_and_saveexec_b64 s[54:55], vcc
	s_xor_b64 vcc, exec, s[54:55]
; %bb.656:                              ;   in Loop: Header=BB12_634 Depth=2
	v_bfe_u32 v28, v58, 16, 1
	v_add3_u32 v38, v58, v28, s73
                                        ; implicit-def: $vgpr58
; %bb.657:                              ;   in Loop: Header=BB12_634 Depth=2
	s_andn2_saveexec_b64 s[54:55], vcc
; %bb.658:                              ;   in Loop: Header=BB12_634 Depth=2
	v_or_b32_e32 v28, 0x10000, v58
	v_cmp_eq_u32_sdwa vcc, v58, v31 src0_sel:WORD_0 src1_sel:DWORD
	s_nop 1
	v_cndmask_b32_e32 v38, v28, v58, vcc
; %bb.659:                              ;   in Loop: Header=BB12_634 Depth=2
	s_or_b64 exec, exec, s[54:55]
	v_accvgpr_read_b32 v29, a42
	v_lshlrev_b32_e32 v28, 16, v37
	v_lshlrev_b32_e32 v37, 16, v29
	v_mul_f32_e32 v58, v28, v37
	v_and_b32_e32 v28, 0x7f800000, v58
	v_cmp_ne_u32_e32 vcc, s72, v28
                                        ; implicit-def: $vgpr37
	s_and_saveexec_b64 s[54:55], vcc
	s_xor_b64 vcc, exec, s[54:55]
; %bb.660:                              ;   in Loop: Header=BB12_634 Depth=2
	v_bfe_u32 v28, v58, 16, 1
	v_add3_u32 v37, v58, v28, s73
                                        ; implicit-def: $vgpr58
; %bb.661:                              ;   in Loop: Header=BB12_634 Depth=2
	s_andn2_saveexec_b64 s[54:55], vcc
; %bb.662:                              ;   in Loop: Header=BB12_634 Depth=2
	v_or_b32_e32 v28, 0x10000, v58
	v_cmp_eq_u32_sdwa vcc, v58, v31 src0_sel:WORD_0 src1_sel:DWORD
	s_nop 1
	v_cndmask_b32_e32 v37, v28, v58, vcc
; %bb.663:                              ;   in Loop: Header=BB12_634 Depth=2
	s_or_b64 exec, exec, s[54:55]
	v_accvgpr_read_b32 v29, a31
	v_lshlrev_b32_e32 v28, 16, v36
	v_lshlrev_b32_e32 v36, 16, v29
	v_mul_f32_e32 v58, v28, v36
	v_and_b32_e32 v28, 0x7f800000, v58
	v_cmp_ne_u32_e32 vcc, s72, v28
                                        ; implicit-def: $vgpr36
	s_and_saveexec_b64 s[54:55], vcc
	s_xor_b64 vcc, exec, s[54:55]
; %bb.664:                              ;   in Loop: Header=BB12_634 Depth=2
	v_bfe_u32 v28, v58, 16, 1
	v_add3_u32 v36, v58, v28, s73
                                        ; implicit-def: $vgpr58
; %bb.665:                              ;   in Loop: Header=BB12_634 Depth=2
	s_andn2_saveexec_b64 s[54:55], vcc
; %bb.666:                              ;   in Loop: Header=BB12_634 Depth=2
	v_or_b32_e32 v28, 0x10000, v58
	v_cmp_eq_u32_sdwa vcc, v58, v31 src0_sel:WORD_0 src1_sel:DWORD
	s_nop 1
	v_cndmask_b32_e32 v36, v28, v58, vcc
; %bb.667:                              ;   in Loop: Header=BB12_634 Depth=2
	s_or_b64 exec, exec, s[54:55]
	v_accvgpr_read_b32 v29, a23
	v_lshlrev_b32_e32 v28, 16, v34
	v_lshlrev_b32_e32 v34, 16, v29
	v_mul_f32_e32 v58, v28, v34
	v_and_b32_e32 v28, 0x7f800000, v58
	v_cmp_ne_u32_e32 vcc, s72, v28
                                        ; implicit-def: $vgpr34
	s_and_saveexec_b64 s[54:55], vcc
	s_xor_b64 vcc, exec, s[54:55]
; %bb.668:                              ;   in Loop: Header=BB12_634 Depth=2
	v_bfe_u32 v28, v58, 16, 1
	v_add3_u32 v34, v58, v28, s73
                                        ; implicit-def: $vgpr58
; %bb.669:                              ;   in Loop: Header=BB12_634 Depth=2
	s_andn2_saveexec_b64 s[54:55], vcc
; %bb.670:                              ;   in Loop: Header=BB12_634 Depth=2
	v_or_b32_e32 v28, 0x10000, v58
	v_cmp_eq_u32_sdwa vcc, v58, v31 src0_sel:WORD_0 src1_sel:DWORD
	s_nop 1
	v_cndmask_b32_e32 v34, v28, v58, vcc
; %bb.671:                              ;   in Loop: Header=BB12_634 Depth=2
	s_or_b64 exec, exec, s[54:55]
	v_accvgpr_read_b32 v29, a22
	v_lshlrev_b32_e32 v28, 16, v30
	v_lshlrev_b32_e32 v30, 16, v29
	v_mul_f32_e32 v58, v28, v30
	v_and_b32_e32 v28, 0x7f800000, v58
	v_cmp_ne_u32_e32 vcc, s72, v28
                                        ; implicit-def: $vgpr30
	s_and_saveexec_b64 s[54:55], vcc
	s_xor_b64 vcc, exec, s[54:55]
; %bb.672:                              ;   in Loop: Header=BB12_634 Depth=2
	v_bfe_u32 v28, v58, 16, 1
	v_add3_u32 v30, v58, v28, s73
                                        ; implicit-def: $vgpr58
; %bb.673:                              ;   in Loop: Header=BB12_634 Depth=2
	s_andn2_saveexec_b64 s[54:55], vcc
; %bb.674:                              ;   in Loop: Header=BB12_634 Depth=2
	v_or_b32_e32 v28, 0x10000, v58
	v_cmp_eq_u32_sdwa vcc, v58, v31 src0_sel:WORD_0 src1_sel:DWORD
	s_nop 1
	v_cndmask_b32_e32 v30, v28, v58, vcc
; %bb.675:                              ;   in Loop: Header=BB12_634 Depth=2
	s_or_b64 exec, exec, s[54:55]
	v_accvgpr_read_b32 v28, a21
	v_lshlrev_b32_e32 v27, 16, v27
	v_lshlrev_b32_e32 v28, 16, v28
	v_mul_f32_e32 v58, v27, v28
	v_and_b32_e32 v27, 0x7f800000, v58
	v_cmp_ne_u32_e32 vcc, s72, v27
                                        ; implicit-def: $vgpr27
	s_and_saveexec_b64 s[54:55], vcc
	s_xor_b64 vcc, exec, s[54:55]
; %bb.676:                              ;   in Loop: Header=BB12_634 Depth=2
	v_bfe_u32 v27, v58, 16, 1
	v_add3_u32 v27, v58, v27, s73
                                        ; implicit-def: $vgpr58
; %bb.677:                              ;   in Loop: Header=BB12_634 Depth=2
	s_andn2_saveexec_b64 s[54:55], vcc
; %bb.678:                              ;   in Loop: Header=BB12_634 Depth=2
	v_or_b32_e32 v27, 0x10000, v58
	v_cmp_eq_u32_sdwa vcc, v58, v31 src0_sel:WORD_0 src1_sel:DWORD
	s_nop 1
	v_cndmask_b32_e32 v27, v27, v58, vcc
; %bb.679:                              ;   in Loop: Header=BB12_634 Depth=2
	s_or_b64 exec, exec, s[54:55]
	v_accvgpr_read_b32 v28, a20
	v_lshlrev_b32_e32 v24, 16, v24
	v_lshlrev_b32_e32 v28, 16, v28
	v_mul_f32_e32 v58, v24, v28
	v_and_b32_e32 v24, 0x7f800000, v58
	v_cmp_ne_u32_e32 vcc, s72, v24
                                        ; implicit-def: $vgpr24
	s_and_saveexec_b64 s[54:55], vcc
	s_xor_b64 vcc, exec, s[54:55]
; %bb.680:                              ;   in Loop: Header=BB12_634 Depth=2
	v_bfe_u32 v24, v58, 16, 1
	v_add3_u32 v24, v58, v24, s73
                                        ; implicit-def: $vgpr58
; %bb.681:                              ;   in Loop: Header=BB12_634 Depth=2
	s_andn2_saveexec_b64 s[54:55], vcc
; %bb.682:                              ;   in Loop: Header=BB12_634 Depth=2
	v_or_b32_e32 v24, 0x10000, v58
	v_cmp_eq_u32_sdwa vcc, v58, v31 src0_sel:WORD_0 src1_sel:DWORD
	s_nop 1
	v_cndmask_b32_e32 v24, v24, v58, vcc
; %bb.683:                              ;   in Loop: Header=BB12_634 Depth=2
	s_or_b64 exec, exec, s[54:55]
	v_accvgpr_read_b32 v28, a14
	v_lshlrev_b32_e32 v20, 16, v20
	v_lshlrev_b32_e32 v28, 16, v28
	v_mul_f32_e32 v58, v20, v28
	v_and_b32_e32 v20, 0x7f800000, v58
	v_cmp_ne_u32_e32 vcc, s72, v20
                                        ; implicit-def: $vgpr20
	s_and_saveexec_b64 s[54:55], vcc
	s_xor_b64 vcc, exec, s[54:55]
; %bb.684:                              ;   in Loop: Header=BB12_634 Depth=2
	v_bfe_u32 v20, v58, 16, 1
	v_add3_u32 v20, v58, v20, s73
                                        ; implicit-def: $vgpr58
; %bb.685:                              ;   in Loop: Header=BB12_634 Depth=2
	s_andn2_saveexec_b64 s[54:55], vcc
; %bb.686:                              ;   in Loop: Header=BB12_634 Depth=2
	v_or_b32_e32 v20, 0x10000, v58
	v_cmp_eq_u32_sdwa vcc, v58, v31 src0_sel:WORD_0 src1_sel:DWORD
	s_nop 1
	v_cndmask_b32_e32 v20, v20, v58, vcc
; %bb.687:                              ;   in Loop: Header=BB12_634 Depth=2
	s_or_b64 exec, exec, s[54:55]
	v_accvgpr_read_b32 v28, a12
	v_lshlrev_b32_e32 v17, 16, v17
	v_lshlrev_b32_e32 v28, 16, v28
	v_mul_f32_e32 v58, v17, v28
	v_and_b32_e32 v17, 0x7f800000, v58
	v_cmp_ne_u32_e32 vcc, s72, v17
                                        ; implicit-def: $vgpr17
	s_and_saveexec_b64 s[54:55], vcc
	s_xor_b64 vcc, exec, s[54:55]
; %bb.688:                              ;   in Loop: Header=BB12_634 Depth=2
	v_bfe_u32 v17, v58, 16, 1
	v_add3_u32 v17, v58, v17, s73
                                        ; implicit-def: $vgpr58
; %bb.689:                              ;   in Loop: Header=BB12_634 Depth=2
	s_andn2_saveexec_b64 s[54:55], vcc
; %bb.690:                              ;   in Loop: Header=BB12_634 Depth=2
	v_or_b32_e32 v17, 0x10000, v58
	v_cmp_eq_u32_sdwa vcc, v58, v31 src0_sel:WORD_0 src1_sel:DWORD
	s_nop 1
	v_cndmask_b32_e32 v17, v17, v58, vcc
; %bb.691:                              ;   in Loop: Header=BB12_634 Depth=2
	s_or_b64 exec, exec, s[54:55]
	v_accvgpr_read_b32 v28, a7
	v_lshlrev_b32_e32 v14, 16, v14
	v_lshlrev_b32_e32 v28, 16, v28
	v_mul_f32_e32 v58, v14, v28
	v_and_b32_e32 v14, 0x7f800000, v58
	v_cmp_ne_u32_e32 vcc, s72, v14
                                        ; implicit-def: $vgpr14
	s_and_saveexec_b64 s[54:55], vcc
	s_xor_b64 vcc, exec, s[54:55]
; %bb.692:                              ;   in Loop: Header=BB12_634 Depth=2
	v_bfe_u32 v14, v58, 16, 1
	v_add3_u32 v14, v58, v14, s73
                                        ; implicit-def: $vgpr58
; %bb.693:                              ;   in Loop: Header=BB12_634 Depth=2
	s_andn2_saveexec_b64 s[54:55], vcc
; %bb.694:                              ;   in Loop: Header=BB12_634 Depth=2
	v_or_b32_e32 v14, 0x10000, v58
	v_cmp_eq_u32_sdwa vcc, v58, v31 src0_sel:WORD_0 src1_sel:DWORD
	s_nop 1
	v_cndmask_b32_e32 v14, v14, v58, vcc
; %bb.695:                              ;   in Loop: Header=BB12_634 Depth=2
	s_or_b64 exec, exec, s[54:55]
	v_accvgpr_read_b32 v28, a6
	v_lshlrev_b32_e32 v12, 16, v12
	v_lshlrev_b32_e32 v28, 16, v28
	v_mul_f32_e32 v58, v12, v28
	v_and_b32_e32 v12, 0x7f800000, v58
	v_cmp_ne_u32_e32 vcc, s72, v12
                                        ; implicit-def: $vgpr12
	s_and_saveexec_b64 s[54:55], vcc
	s_xor_b64 vcc, exec, s[54:55]
; %bb.696:                              ;   in Loop: Header=BB12_634 Depth=2
	v_bfe_u32 v12, v58, 16, 1
	v_add3_u32 v12, v58, v12, s73
                                        ; implicit-def: $vgpr58
; %bb.697:                              ;   in Loop: Header=BB12_634 Depth=2
	s_andn2_saveexec_b64 s[54:55], vcc
; %bb.698:                              ;   in Loop: Header=BB12_634 Depth=2
	v_or_b32_e32 v12, 0x10000, v58
	v_cmp_eq_u32_sdwa vcc, v58, v31 src0_sel:WORD_0 src1_sel:DWORD
	s_nop 1
	v_cndmask_b32_e32 v12, v12, v58, vcc
; %bb.699:                              ;   in Loop: Header=BB12_634 Depth=2
	s_or_b64 exec, exec, s[54:55]
	v_accvgpr_read_b32 v28, a50
	v_lshrrev_b32_e32 v58, 16, v25
	v_accvgpr_read_b32 v29, a51
	v_lshrrev_b32_e32 v14, 16, v14
	v_lshrrev_b32_e32 v17, 16, v17
	;; [unrolled: 1-line block ×15, first 2 shown]
	flat_store_short v[0:1], v58 nt
	flat_store_short v[0:1], v46 offset:128 nt
	flat_store_short v[0:1], v41 offset:256 nt
	;; [unrolled: 1-line block ×15, first 2 shown]
	v_lshl_add_u64 v[0:1], v[0:1], 0, v[28:29]
.LBB12_700:                             ;   in Loop: Header=BB12_634 Depth=2
	s_or_b64 exec, exec, s[56:57]
	v_accvgpr_read_b32 v28, a50
	v_accvgpr_read_b32 v29, a51
	v_lshl_add_u64 v[2:3], v[2:3], 0, v[28:29]
	v_lshl_add_u64 v[4:5], v[4:5], 0, v[28:29]
	v_accvgpr_read_b32 v29, a3
	v_accvgpr_read_b32 v28, a2
	v_sub_u32_e32 v25, v6, v28
	v_cmp_lt_i32_e64 s[54:55], 0, v25
	s_and_saveexec_b64 vcc, s[54:55]
	s_cbranch_execz .LBB12_702
; %bb.701:                              ;   in Loop: Header=BB12_634 Depth=2
	flat_load_ushort v58, v[2:3] nt
	flat_load_ushort v46, v[2:3] offset:128 nt
	flat_load_ushort v41, v[2:3] offset:256 nt
	;; [unrolled: 1-line block ×15, first 2 shown]
	flat_load_ushort v35, v[4:5] nt
	flat_load_ushort v33, v[4:5] offset:128 nt
	flat_load_ushort v32, v[4:5] offset:256 nt
	;; [unrolled: 1-line block ×15, first 2 shown]
	v_lshl_add_u64 v[2:3], v[2:3], 0, s[42:43]
	v_lshl_add_u64 v[4:5], v[4:5], 0, s[42:43]
.LBB12_702:                             ;   in Loop: Header=BB12_634 Depth=2
	s_or_b64 exec, exec, vcc
	s_waitcnt vmcnt(0) lgkmcnt(0)
	v_lshlrev_b32_e32 v6, 16, v23
	v_lshlrev_b32_e32 v28, 16, v7
	v_pk_mul_f32 v[6:7], v[6:7], v[28:29] op_sel_hi:[0,1]
	v_and_b32_e32 v7, 0x7f800000, v6
	v_cmp_ne_u32_e32 vcc, s72, v7
                                        ; implicit-def: $vgpr23
	s_and_saveexec_b64 s[56:57], vcc
	s_xor_b64 vcc, exec, s[56:57]
; %bb.703:                              ;   in Loop: Header=BB12_634 Depth=2
	v_bfe_u32 v7, v6, 16, 1
	v_add3_u32 v23, v6, v7, s73
                                        ; implicit-def: $vgpr6_vgpr7
; %bb.704:                              ;   in Loop: Header=BB12_634 Depth=2
	s_andn2_saveexec_b64 s[56:57], vcc
; %bb.705:                              ;   in Loop: Header=BB12_634 Depth=2
	v_or_b32_e32 v7, 0x10000, v6
	v_cmp_eq_u32_sdwa vcc, v6, v31 src0_sel:WORD_0 src1_sel:DWORD
	s_nop 1
	v_cndmask_b32_e32 v23, v7, v6, vcc
; %bb.706:                              ;   in Loop: Header=BB12_634 Depth=2
	s_or_b64 exec, exec, s[56:57]
	v_lshlrev_b32_e32 v6, 16, v22
	v_lshlrev_b32_e32 v22, 16, v21
	v_pk_mul_f32 v[6:7], v[6:7], v[22:23] op_sel_hi:[0,1]
	v_and_b32_e32 v7, 0x7f800000, v6
	v_cmp_ne_u32_e32 vcc, s72, v7
                                        ; implicit-def: $vgpr21
	s_and_saveexec_b64 s[56:57], vcc
	s_xor_b64 vcc, exec, s[56:57]
; %bb.707:                              ;   in Loop: Header=BB12_634 Depth=2
	v_bfe_u32 v7, v6, 16, 1
	v_add3_u32 v21, v6, v7, s73
                                        ; implicit-def: $vgpr6_vgpr7
; %bb.708:                              ;   in Loop: Header=BB12_634 Depth=2
	s_andn2_saveexec_b64 s[56:57], vcc
; %bb.709:                              ;   in Loop: Header=BB12_634 Depth=2
	v_or_b32_e32 v7, 0x10000, v6
	v_cmp_eq_u32_sdwa vcc, v6, v31 src0_sel:WORD_0 src1_sel:DWORD
	s_nop 1
	v_cndmask_b32_e32 v21, v7, v6, vcc
; %bb.710:                              ;   in Loop: Header=BB12_634 Depth=2
	s_or_b64 exec, exec, s[56:57]
	v_lshlrev_b32_e32 v6, 16, v19
	v_lshlrev_b32_e32 v18, 16, v18
	v_pk_mul_f32 v[6:7], v[6:7], v[18:19] op_sel_hi:[0,1]
	v_and_b32_e32 v7, 0x7f800000, v6
	v_cmp_ne_u32_e32 vcc, s72, v7
                                        ; implicit-def: $vgpr18
	s_and_saveexec_b64 s[56:57], vcc
	s_xor_b64 vcc, exec, s[56:57]
; %bb.711:                              ;   in Loop: Header=BB12_634 Depth=2
	v_bfe_u32 v7, v6, 16, 1
	v_add3_u32 v18, v6, v7, s73
                                        ; implicit-def: $vgpr6_vgpr7
; %bb.712:                              ;   in Loop: Header=BB12_634 Depth=2
	s_andn2_saveexec_b64 s[56:57], vcc
; %bb.713:                              ;   in Loop: Header=BB12_634 Depth=2
	v_or_b32_e32 v7, 0x10000, v6
	v_cmp_eq_u32_sdwa vcc, v6, v31 src0_sel:WORD_0 src1_sel:DWORD
	s_nop 1
	v_cndmask_b32_e32 v18, v7, v6, vcc
; %bb.714:                              ;   in Loop: Header=BB12_634 Depth=2
	s_or_b64 exec, exec, s[56:57]
	v_lshlrev_b32_e32 v6, 16, v16
	v_lshlrev_b32_e32 v16, 16, v15
	v_pk_mul_f32 v[6:7], v[6:7], v[16:17] op_sel_hi:[0,1]
	v_and_b32_e32 v7, 0x7f800000, v6
	v_cmp_ne_u32_e32 vcc, s72, v7
                                        ; implicit-def: $vgpr15
	s_and_saveexec_b64 s[56:57], vcc
	s_xor_b64 vcc, exec, s[56:57]
; %bb.715:                              ;   in Loop: Header=BB12_634 Depth=2
	v_bfe_u32 v7, v6, 16, 1
	v_add3_u32 v15, v6, v7, s73
                                        ; implicit-def: $vgpr6_vgpr7
; %bb.716:                              ;   in Loop: Header=BB12_634 Depth=2
	s_andn2_saveexec_b64 s[56:57], vcc
; %bb.717:                              ;   in Loop: Header=BB12_634 Depth=2
	v_or_b32_e32 v7, 0x10000, v6
	v_cmp_eq_u32_sdwa vcc, v6, v31 src0_sel:WORD_0 src1_sel:DWORD
	s_nop 1
	v_cndmask_b32_e32 v15, v7, v6, vcc
; %bb.718:                              ;   in Loop: Header=BB12_634 Depth=2
	s_or_b64 exec, exec, s[56:57]
	v_lshlrev_b32_e32 v6, 16, v13
	v_lshlrev_b32_e32 v16, 16, v11
	v_pk_mul_f32 v[6:7], v[6:7], v[16:17] op_sel_hi:[0,1]
	v_and_b32_e32 v7, 0x7f800000, v6
	v_cmp_ne_u32_e32 vcc, s72, v7
                                        ; implicit-def: $vgpr11
	s_and_saveexec_b64 s[56:57], vcc
	s_xor_b64 vcc, exec, s[56:57]
; %bb.719:                              ;   in Loop: Header=BB12_634 Depth=2
	v_bfe_u32 v7, v6, 16, 1
	v_add3_u32 v11, v6, v7, s73
                                        ; implicit-def: $vgpr6_vgpr7
; %bb.720:                              ;   in Loop: Header=BB12_634 Depth=2
	s_andn2_saveexec_b64 s[56:57], vcc
; %bb.721:                              ;   in Loop: Header=BB12_634 Depth=2
	v_or_b32_e32 v7, 0x10000, v6
	v_cmp_eq_u32_sdwa vcc, v6, v31 src0_sel:WORD_0 src1_sel:DWORD
	s_nop 1
	v_cndmask_b32_e32 v11, v7, v6, vcc
; %bb.722:                              ;   in Loop: Header=BB12_634 Depth=2
	s_or_b64 exec, exec, s[56:57]
	v_lshlrev_b32_e32 v6, 16, v8
	v_lshlrev_b32_e32 v8, 16, v9
	v_pk_mul_f32 v[6:7], v[6:7], v[8:9] op_sel_hi:[0,1]
	v_and_b32_e32 v7, 0x7f800000, v6
	v_cmp_ne_u32_e32 vcc, s72, v7
                                        ; implicit-def: $vgpr8
	s_and_saveexec_b64 s[56:57], vcc
	s_xor_b64 vcc, exec, s[56:57]
; %bb.723:                              ;   in Loop: Header=BB12_634 Depth=2
	v_bfe_u32 v7, v6, 16, 1
	v_add3_u32 v8, v6, v7, s73
                                        ; implicit-def: $vgpr6_vgpr7
; %bb.724:                              ;   in Loop: Header=BB12_634 Depth=2
	s_andn2_saveexec_b64 s[56:57], vcc
; %bb.725:                              ;   in Loop: Header=BB12_634 Depth=2
	v_or_b32_e32 v7, 0x10000, v6
	v_cmp_eq_u32_sdwa vcc, v6, v31 src0_sel:WORD_0 src1_sel:DWORD
	s_nop 1
	v_cndmask_b32_e32 v8, v7, v6, vcc
; %bb.726:                              ;   in Loop: Header=BB12_634 Depth=2
	s_or_b64 exec, exec, s[56:57]
	v_lshlrev_b32_e32 v6, 16, v10
	v_lshlrev_b32_e32 v10, 16, v62
	v_pk_mul_f32 v[6:7], v[6:7], v[10:11] op_sel_hi:[0,1]
	v_and_b32_e32 v7, 0x7f800000, v6
	v_cmp_ne_u32_e32 vcc, s72, v7
                                        ; implicit-def: $vgpr9
	s_and_saveexec_b64 s[56:57], vcc
	s_xor_b64 vcc, exec, s[56:57]
; %bb.727:                              ;   in Loop: Header=BB12_634 Depth=2
	v_bfe_u32 v7, v6, 16, 1
	v_add3_u32 v9, v6, v7, s73
                                        ; implicit-def: $vgpr6_vgpr7
; %bb.728:                              ;   in Loop: Header=BB12_634 Depth=2
	s_andn2_saveexec_b64 s[56:57], vcc
; %bb.729:                              ;   in Loop: Header=BB12_634 Depth=2
	v_or_b32_e32 v7, 0x10000, v6
	v_cmp_eq_u32_sdwa vcc, v6, v31 src0_sel:WORD_0 src1_sel:DWORD
	s_nop 1
	v_cndmask_b32_e32 v9, v7, v6, vcc
; %bb.730:                              ;   in Loop: Header=BB12_634 Depth=2
	s_or_b64 exec, exec, s[56:57]
	v_lshlrev_b32_e32 v6, 16, v61
	v_lshlrev_b32_e32 v10, 16, v60
	v_pk_mul_f32 v[6:7], v[6:7], v[10:11] op_sel_hi:[0,1]
	v_and_b32_e32 v7, 0x7f800000, v6
	v_cmp_ne_u32_e32 vcc, s72, v7
                                        ; implicit-def: $vgpr10
	s_and_saveexec_b64 s[56:57], vcc
	s_xor_b64 vcc, exec, s[56:57]
; %bb.731:                              ;   in Loop: Header=BB12_634 Depth=2
	v_bfe_u32 v7, v6, 16, 1
	v_add3_u32 v10, v6, v7, s73
                                        ; implicit-def: $vgpr6_vgpr7
; %bb.732:                              ;   in Loop: Header=BB12_634 Depth=2
	s_andn2_saveexec_b64 s[56:57], vcc
; %bb.733:                              ;   in Loop: Header=BB12_634 Depth=2
	v_or_b32_e32 v7, 0x10000, v6
	v_cmp_eq_u32_sdwa vcc, v6, v31 src0_sel:WORD_0 src1_sel:DWORD
	s_nop 1
	v_cndmask_b32_e32 v10, v7, v6, vcc
; %bb.734:                              ;   in Loop: Header=BB12_634 Depth=2
	s_or_b64 exec, exec, s[56:57]
	v_lshlrev_b32_e32 v6, 16, v59
	v_lshlrev_b32_e32 v16, 16, v57
	v_pk_mul_f32 v[6:7], v[6:7], v[16:17] op_sel_hi:[0,1]
	v_and_b32_e32 v7, 0x7f800000, v6
	v_cmp_ne_u32_e32 vcc, s72, v7
                                        ; implicit-def: $vgpr13
	s_and_saveexec_b64 s[56:57], vcc
	s_xor_b64 vcc, exec, s[56:57]
; %bb.735:                              ;   in Loop: Header=BB12_634 Depth=2
	v_bfe_u32 v7, v6, 16, 1
	v_add3_u32 v13, v6, v7, s73
                                        ; implicit-def: $vgpr6_vgpr7
; %bb.736:                              ;   in Loop: Header=BB12_634 Depth=2
	s_andn2_saveexec_b64 s[56:57], vcc
; %bb.737:                              ;   in Loop: Header=BB12_634 Depth=2
	v_or_b32_e32 v7, 0x10000, v6
	v_cmp_eq_u32_sdwa vcc, v6, v31 src0_sel:WORD_0 src1_sel:DWORD
	s_nop 1
	v_cndmask_b32_e32 v13, v7, v6, vcc
; %bb.738:                              ;   in Loop: Header=BB12_634 Depth=2
	s_or_b64 exec, exec, s[56:57]
	v_lshlrev_b32_e32 v6, 16, v56
	v_lshlrev_b32_e32 v16, 16, v47
	v_pk_mul_f32 v[6:7], v[6:7], v[16:17] op_sel_hi:[0,1]
	v_and_b32_e32 v7, 0x7f800000, v6
	v_cmp_ne_u32_e32 vcc, s72, v7
                                        ; implicit-def: $vgpr16
	s_and_saveexec_b64 s[56:57], vcc
	s_xor_b64 vcc, exec, s[56:57]
; %bb.739:                              ;   in Loop: Header=BB12_634 Depth=2
	v_bfe_u32 v7, v6, 16, 1
	v_add3_u32 v16, v6, v7, s73
                                        ; implicit-def: $vgpr6_vgpr7
; %bb.740:                              ;   in Loop: Header=BB12_634 Depth=2
	s_andn2_saveexec_b64 s[56:57], vcc
; %bb.741:                              ;   in Loop: Header=BB12_634 Depth=2
	v_or_b32_e32 v7, 0x10000, v6
	v_cmp_eq_u32_sdwa vcc, v6, v31 src0_sel:WORD_0 src1_sel:DWORD
	s_nop 1
	v_cndmask_b32_e32 v16, v7, v6, vcc
; %bb.742:                              ;   in Loop: Header=BB12_634 Depth=2
	s_or_b64 exec, exec, s[56:57]
	v_lshlrev_b32_e32 v6, 16, v45
	v_lshlrev_b32_e32 v22, 16, v44
	v_pk_mul_f32 v[6:7], v[6:7], v[22:23] op_sel_hi:[0,1]
	v_and_b32_e32 v7, 0x7f800000, v6
	v_cmp_ne_u32_e32 vcc, s72, v7
                                        ; implicit-def: $vgpr19
	s_and_saveexec_b64 s[56:57], vcc
	s_xor_b64 vcc, exec, s[56:57]
; %bb.743:                              ;   in Loop: Header=BB12_634 Depth=2
	v_bfe_u32 v7, v6, 16, 1
	v_add3_u32 v19, v6, v7, s73
                                        ; implicit-def: $vgpr6_vgpr7
; %bb.744:                              ;   in Loop: Header=BB12_634 Depth=2
	s_andn2_saveexec_b64 s[56:57], vcc
; %bb.745:                              ;   in Loop: Header=BB12_634 Depth=2
	v_or_b32_e32 v7, 0x10000, v6
	v_cmp_eq_u32_sdwa vcc, v6, v31 src0_sel:WORD_0 src1_sel:DWORD
	s_nop 1
	v_cndmask_b32_e32 v19, v7, v6, vcc
; %bb.746:                              ;   in Loop: Header=BB12_634 Depth=2
	s_or_b64 exec, exec, s[56:57]
	v_lshlrev_b32_e32 v6, 16, v43
	v_lshlrev_b32_e32 v22, 16, v42
	v_pk_mul_f32 v[6:7], v[6:7], v[22:23] op_sel_hi:[0,1]
	v_and_b32_e32 v7, 0x7f800000, v6
	v_cmp_ne_u32_e32 vcc, s72, v7
                                        ; implicit-def: $vgpr22
	s_and_saveexec_b64 s[56:57], vcc
	s_xor_b64 vcc, exec, s[56:57]
; %bb.747:                              ;   in Loop: Header=BB12_634 Depth=2
	v_bfe_u32 v7, v6, 16, 1
	v_add3_u32 v22, v6, v7, s73
                                        ; implicit-def: $vgpr6_vgpr7
; %bb.748:                              ;   in Loop: Header=BB12_634 Depth=2
	s_andn2_saveexec_b64 s[56:57], vcc
; %bb.749:                              ;   in Loop: Header=BB12_634 Depth=2
	v_or_b32_e32 v7, 0x10000, v6
	v_cmp_eq_u32_sdwa vcc, v6, v31 src0_sel:WORD_0 src1_sel:DWORD
	s_nop 1
	v_cndmask_b32_e32 v22, v7, v6, vcc
; %bb.750:                              ;   in Loop: Header=BB12_634 Depth=2
	s_or_b64 exec, exec, s[56:57]
	v_lshlrev_b32_e32 v6, 16, v40
	v_lshlrev_b32_e32 v28, 16, v55
	v_pk_mul_f32 v[6:7], v[6:7], v[28:29] op_sel_hi:[0,1]
	v_and_b32_e32 v7, 0x7f800000, v6
	v_cmp_ne_u32_e32 vcc, s72, v7
                                        ; implicit-def: $vgpr55
	s_and_saveexec_b64 s[56:57], vcc
	s_xor_b64 vcc, exec, s[56:57]
; %bb.751:                              ;   in Loop: Header=BB12_634 Depth=2
	v_bfe_u32 v7, v6, 16, 1
	v_add3_u32 v55, v6, v7, s73
                                        ; implicit-def: $vgpr6_vgpr7
; %bb.752:                              ;   in Loop: Header=BB12_634 Depth=2
	s_andn2_saveexec_b64 s[56:57], vcc
; %bb.753:                              ;   in Loop: Header=BB12_634 Depth=2
	v_or_b32_e32 v7, 0x10000, v6
	v_cmp_eq_u32_sdwa vcc, v6, v31 src0_sel:WORD_0 src1_sel:DWORD
	s_nop 1
	v_cndmask_b32_e32 v55, v7, v6, vcc
; %bb.754:                              ;   in Loop: Header=BB12_634 Depth=2
	s_or_b64 exec, exec, s[56:57]
	v_lshlrev_b32_e32 v6, 16, v54
	v_lshlrev_b32_e32 v28, 16, v53
	v_pk_mul_f32 v[6:7], v[6:7], v[28:29] op_sel_hi:[0,1]
	v_and_b32_e32 v7, 0x7f800000, v6
	v_cmp_ne_u32_e32 vcc, s72, v7
                                        ; implicit-def: $vgpr53
	s_and_saveexec_b64 s[56:57], vcc
	s_xor_b64 vcc, exec, s[56:57]
; %bb.755:                              ;   in Loop: Header=BB12_634 Depth=2
	v_bfe_u32 v7, v6, 16, 1
	v_add3_u32 v53, v6, v7, s73
                                        ; implicit-def: $vgpr6_vgpr7
; %bb.756:                              ;   in Loop: Header=BB12_634 Depth=2
	s_andn2_saveexec_b64 s[56:57], vcc
; %bb.757:                              ;   in Loop: Header=BB12_634 Depth=2
	v_or_b32_e32 v7, 0x10000, v6
	v_cmp_eq_u32_sdwa vcc, v6, v31 src0_sel:WORD_0 src1_sel:DWORD
	s_nop 1
	v_cndmask_b32_e32 v53, v7, v6, vcc
; %bb.758:                              ;   in Loop: Header=BB12_634 Depth=2
	s_or_b64 exec, exec, s[56:57]
	v_lshlrev_b32_e32 v6, 16, v51
	v_lshlrev_b32_e32 v28, 16, v50
	v_pk_mul_f32 v[6:7], v[6:7], v[28:29] op_sel_hi:[0,1]
	v_and_b32_e32 v7, 0x7f800000, v6
	v_cmp_ne_u32_e32 vcc, s72, v7
                                        ; implicit-def: $vgpr50
	s_and_saveexec_b64 s[56:57], vcc
	s_xor_b64 vcc, exec, s[56:57]
; %bb.759:                              ;   in Loop: Header=BB12_634 Depth=2
	v_bfe_u32 v7, v6, 16, 1
	v_add3_u32 v50, v6, v7, s73
                                        ; implicit-def: $vgpr6_vgpr7
; %bb.760:                              ;   in Loop: Header=BB12_634 Depth=2
	s_andn2_saveexec_b64 s[56:57], vcc
; %bb.761:                              ;   in Loop: Header=BB12_634 Depth=2
	v_or_b32_e32 v7, 0x10000, v6
	v_cmp_eq_u32_sdwa vcc, v6, v31 src0_sel:WORD_0 src1_sel:DWORD
	s_nop 1
	v_cndmask_b32_e32 v50, v7, v6, vcc
; %bb.762:                              ;   in Loop: Header=BB12_634 Depth=2
	s_or_b64 exec, exec, s[56:57]
	v_lshlrev_b32_e32 v6, 16, v49
	v_lshlrev_b32_e32 v28, 16, v48
	v_pk_mul_f32 v[6:7], v[6:7], v[28:29] op_sel_hi:[0,1]
	v_and_b32_e32 v7, 0x7f800000, v6
	v_cmp_ne_u32_e32 vcc, s72, v7
                                        ; implicit-def: $vgpr48
	s_and_saveexec_b64 s[56:57], vcc
	s_xor_b64 vcc, exec, s[56:57]
; %bb.763:                              ;   in Loop: Header=BB12_634 Depth=2
	v_bfe_u32 v7, v6, 16, 1
	v_add3_u32 v48, v6, v7, s73
                                        ; implicit-def: $vgpr6_vgpr7
; %bb.764:                              ;   in Loop: Header=BB12_634 Depth=2
	s_andn2_saveexec_b64 s[56:57], vcc
	s_cbranch_execz .LBB12_633
; %bb.765:                              ;   in Loop: Header=BB12_634 Depth=2
	v_or_b32_e32 v7, 0x10000, v6
	v_cmp_eq_u32_sdwa vcc, v6, v31 src0_sel:WORD_0 src1_sel:DWORD
	s_nop 1
	v_cndmask_b32_e32 v48, v7, v6, vcc
	s_branch .LBB12_633
.LBB12_766:                             ;   in Loop: Header=BB12_49 Depth=1
	s_or_b64 exec, exec, s[20:21]
	scratch_load_dword v48, off, s33 offset:384 ; 4-byte Folded Reload
	scratch_load_dword v49, off, s33 offset:400 ; 4-byte Folded Reload
	;; [unrolled: 1-line block ×6, first 2 shown]
	v_accvgpr_read_b32 v42, a56
	s_and_b64 s[20:21], s[52:53], exec
	v_accvgpr_read_b32 v43, a57
	v_mov_b32_e32 v55, 1
	v_mov_b32_e32 v40, 0x80
	v_accvgpr_read_b32 v44, a58
	v_accvgpr_read_b32 v47, a59
	;; [unrolled: 1-line block ×4, first 2 shown]
.LBB12_767:                             ;   in Loop: Header=BB12_49 Depth=1
	s_or_b64 exec, exec, s[18:19]
	s_and_saveexec_b64 s[18:19], s[20:21]
	s_cbranch_execz .LBB12_833
; %bb.768:                              ;   in Loop: Header=BB12_49 Depth=1
	v_lshlrev_b32_e32 v2, 16, v58
	v_lshlrev_b32_e32 v3, 16, v35
	v_mul_f32_e32 v3, v3, v2
	v_and_b32_e32 v2, 0x7f800000, v3
	v_cmp_ne_u32_e32 vcc, s72, v2
                                        ; implicit-def: $vgpr2
	s_and_saveexec_b64 s[20:21], vcc
	s_xor_b64 s[20:21], exec, s[20:21]
; %bb.769:                              ;   in Loop: Header=BB12_49 Depth=1
	v_bfe_u32 v2, v3, 16, 1
	v_add3_u32 v2, v3, v2, s73
                                        ; implicit-def: $vgpr3
; %bb.770:                              ;   in Loop: Header=BB12_49 Depth=1
	s_andn2_saveexec_b64 s[20:21], s[20:21]
; %bb.771:                              ;   in Loop: Header=BB12_49 Depth=1
	v_or_b32_e32 v2, 0x10000, v3
	v_cmp_eq_u32_sdwa vcc, v3, v31 src0_sel:WORD_0 src1_sel:DWORD
	s_nop 1
	v_cndmask_b32_e32 v2, v2, v3, vcc
; %bb.772:                              ;   in Loop: Header=BB12_49 Depth=1
	s_or_b64 exec, exec, s[20:21]
	v_lshlrev_b32_e32 v3, 16, v46
	v_lshlrev_b32_e32 v4, 16, v33
	v_mul_f32_e32 v4, v4, v3
	v_and_b32_e32 v3, 0x7f800000, v4
	v_cmp_ne_u32_e32 vcc, s72, v3
                                        ; implicit-def: $vgpr3
	s_and_saveexec_b64 s[20:21], vcc
	s_xor_b64 s[20:21], exec, s[20:21]
; %bb.773:                              ;   in Loop: Header=BB12_49 Depth=1
	v_bfe_u32 v3, v4, 16, 1
	v_add3_u32 v3, v4, v3, s73
                                        ; implicit-def: $vgpr4
; %bb.774:                              ;   in Loop: Header=BB12_49 Depth=1
	s_andn2_saveexec_b64 s[20:21], s[20:21]
; %bb.775:                              ;   in Loop: Header=BB12_49 Depth=1
	v_or_b32_e32 v3, 0x10000, v4
	v_cmp_eq_u32_sdwa vcc, v4, v31 src0_sel:WORD_0 src1_sel:DWORD
	s_nop 1
	v_cndmask_b32_e32 v3, v3, v4, vcc
; %bb.776:                              ;   in Loop: Header=BB12_49 Depth=1
	s_or_b64 exec, exec, s[20:21]
	v_lshlrev_b32_e32 v4, 16, v41
	v_lshlrev_b32_e32 v5, 16, v32
	v_mul_f32_e32 v5, v5, v4
	v_and_b32_e32 v4, 0x7f800000, v5
	v_cmp_ne_u32_e32 vcc, s72, v4
                                        ; implicit-def: $vgpr4
	s_and_saveexec_b64 s[20:21], vcc
	s_xor_b64 s[20:21], exec, s[20:21]
; %bb.777:                              ;   in Loop: Header=BB12_49 Depth=1
	v_bfe_u32 v4, v5, 16, 1
	v_add3_u32 v4, v5, v4, s73
                                        ; implicit-def: $vgpr5
; %bb.778:                              ;   in Loop: Header=BB12_49 Depth=1
	s_andn2_saveexec_b64 s[20:21], s[20:21]
; %bb.779:                              ;   in Loop: Header=BB12_49 Depth=1
	v_or_b32_e32 v4, 0x10000, v5
	v_cmp_eq_u32_sdwa vcc, v5, v31 src0_sel:WORD_0 src1_sel:DWORD
	s_nop 1
	v_cndmask_b32_e32 v4, v4, v5, vcc
; %bb.780:                              ;   in Loop: Header=BB12_49 Depth=1
	s_or_b64 exec, exec, s[20:21]
	v_lshlrev_b32_e32 v5, 16, v52
	v_lshlrev_b32_e32 v7, 16, v26
	v_mul_f32_e32 v7, v7, v5
	v_and_b32_e32 v5, 0x7f800000, v7
	v_cmp_ne_u32_e32 vcc, s72, v5
                                        ; implicit-def: $vgpr5
	s_and_saveexec_b64 s[20:21], vcc
	s_xor_b64 s[20:21], exec, s[20:21]
; %bb.781:                              ;   in Loop: Header=BB12_49 Depth=1
	v_bfe_u32 v5, v7, 16, 1
	v_add3_u32 v5, v7, v5, s73
                                        ; implicit-def: $vgpr7
; %bb.782:                              ;   in Loop: Header=BB12_49 Depth=1
	s_andn2_saveexec_b64 s[20:21], s[20:21]
; %bb.783:                              ;   in Loop: Header=BB12_49 Depth=1
	v_or_b32_e32 v5, 0x10000, v7
	v_cmp_eq_u32_sdwa vcc, v7, v31 src0_sel:WORD_0 src1_sel:DWORD
	s_nop 1
	v_cndmask_b32_e32 v5, v5, v7, vcc
; %bb.784:                              ;   in Loop: Header=BB12_49 Depth=1
	s_or_b64 exec, exec, s[20:21]
	v_accvgpr_read_b32 v8, a44
	v_lshlrev_b32_e32 v7, 16, v39
	v_lshlrev_b32_e32 v8, 16, v8
	v_mul_f32_e32 v8, v8, v7
	v_and_b32_e32 v7, 0x7f800000, v8
	v_cmp_ne_u32_e32 vcc, s72, v7
                                        ; implicit-def: $vgpr7
	s_and_saveexec_b64 s[20:21], vcc
	s_xor_b64 s[20:21], exec, s[20:21]
; %bb.785:                              ;   in Loop: Header=BB12_49 Depth=1
	v_bfe_u32 v7, v8, 16, 1
	v_add3_u32 v7, v8, v7, s73
                                        ; implicit-def: $vgpr8
; %bb.786:                              ;   in Loop: Header=BB12_49 Depth=1
	s_andn2_saveexec_b64 s[20:21], s[20:21]
; %bb.787:                              ;   in Loop: Header=BB12_49 Depth=1
	v_or_b32_e32 v7, 0x10000, v8
	v_cmp_eq_u32_sdwa vcc, v8, v31 src0_sel:WORD_0 src1_sel:DWORD
	s_nop 1
	v_cndmask_b32_e32 v7, v7, v8, vcc
; %bb.788:                              ;   in Loop: Header=BB12_49 Depth=1
	s_or_b64 exec, exec, s[20:21]
	v_accvgpr_read_b32 v9, a43
	v_lshlrev_b32_e32 v8, 16, v38
	v_lshlrev_b32_e32 v9, 16, v9
	v_mul_f32_e32 v9, v9, v8
	v_and_b32_e32 v8, 0x7f800000, v9
	v_cmp_ne_u32_e32 vcc, s72, v8
                                        ; implicit-def: $vgpr8
	s_and_saveexec_b64 s[20:21], vcc
	s_xor_b64 s[20:21], exec, s[20:21]
; %bb.789:                              ;   in Loop: Header=BB12_49 Depth=1
	v_bfe_u32 v8, v9, 16, 1
	v_add3_u32 v8, v9, v8, s73
                                        ; implicit-def: $vgpr9
; %bb.790:                              ;   in Loop: Header=BB12_49 Depth=1
	s_andn2_saveexec_b64 s[20:21], s[20:21]
; %bb.791:                              ;   in Loop: Header=BB12_49 Depth=1
	v_or_b32_e32 v8, 0x10000, v9
	v_cmp_eq_u32_sdwa vcc, v9, v31 src0_sel:WORD_0 src1_sel:DWORD
	s_nop 1
	v_cndmask_b32_e32 v8, v8, v9, vcc
; %bb.792:                              ;   in Loop: Header=BB12_49 Depth=1
	s_or_b64 exec, exec, s[20:21]
	v_accvgpr_read_b32 v10, a42
	v_lshlrev_b32_e32 v9, 16, v37
	v_lshlrev_b32_e32 v10, 16, v10
	v_mul_f32_e32 v10, v10, v9
	v_and_b32_e32 v9, 0x7f800000, v10
	v_cmp_ne_u32_e32 vcc, s72, v9
                                        ; implicit-def: $vgpr9
	s_and_saveexec_b64 s[20:21], vcc
	s_xor_b64 s[20:21], exec, s[20:21]
; %bb.793:                              ;   in Loop: Header=BB12_49 Depth=1
	v_bfe_u32 v9, v10, 16, 1
	v_add3_u32 v9, v10, v9, s73
                                        ; implicit-def: $vgpr10
; %bb.794:                              ;   in Loop: Header=BB12_49 Depth=1
	s_andn2_saveexec_b64 s[20:21], s[20:21]
; %bb.795:                              ;   in Loop: Header=BB12_49 Depth=1
	v_or_b32_e32 v9, 0x10000, v10
	v_cmp_eq_u32_sdwa vcc, v10, v31 src0_sel:WORD_0 src1_sel:DWORD
	s_nop 1
	v_cndmask_b32_e32 v9, v9, v10, vcc
; %bb.796:                              ;   in Loop: Header=BB12_49 Depth=1
	s_or_b64 exec, exec, s[20:21]
	v_accvgpr_read_b32 v11, a31
	v_lshlrev_b32_e32 v10, 16, v36
	v_lshlrev_b32_e32 v11, 16, v11
	v_mul_f32_e32 v11, v11, v10
	v_and_b32_e32 v10, 0x7f800000, v11
	v_cmp_ne_u32_e32 vcc, s72, v10
                                        ; implicit-def: $vgpr10
	s_and_saveexec_b64 s[20:21], vcc
	s_xor_b64 s[20:21], exec, s[20:21]
; %bb.797:                              ;   in Loop: Header=BB12_49 Depth=1
	v_bfe_u32 v10, v11, 16, 1
	v_add3_u32 v10, v11, v10, s73
                                        ; implicit-def: $vgpr11
; %bb.798:                              ;   in Loop: Header=BB12_49 Depth=1
	s_andn2_saveexec_b64 s[20:21], s[20:21]
; %bb.799:                              ;   in Loop: Header=BB12_49 Depth=1
	v_or_b32_e32 v10, 0x10000, v11
	v_cmp_eq_u32_sdwa vcc, v11, v31 src0_sel:WORD_0 src1_sel:DWORD
	s_nop 1
	v_cndmask_b32_e32 v10, v10, v11, vcc
; %bb.800:                              ;   in Loop: Header=BB12_49 Depth=1
	s_or_b64 exec, exec, s[20:21]
	v_accvgpr_read_b32 v13, a23
	v_lshlrev_b32_e32 v11, 16, v34
	v_lshlrev_b32_e32 v13, 16, v13
	v_mul_f32_e32 v13, v13, v11
	v_and_b32_e32 v11, 0x7f800000, v13
	v_cmp_ne_u32_e32 vcc, s72, v11
                                        ; implicit-def: $vgpr11
	s_and_saveexec_b64 s[20:21], vcc
	s_xor_b64 s[20:21], exec, s[20:21]
; %bb.801:                              ;   in Loop: Header=BB12_49 Depth=1
	v_bfe_u32 v11, v13, 16, 1
	v_add3_u32 v11, v13, v11, s73
                                        ; implicit-def: $vgpr13
; %bb.802:                              ;   in Loop: Header=BB12_49 Depth=1
	s_andn2_saveexec_b64 s[20:21], s[20:21]
; %bb.803:                              ;   in Loop: Header=BB12_49 Depth=1
	v_or_b32_e32 v11, 0x10000, v13
	v_cmp_eq_u32_sdwa vcc, v13, v31 src0_sel:WORD_0 src1_sel:DWORD
	s_nop 1
	v_cndmask_b32_e32 v11, v11, v13, vcc
; %bb.804:                              ;   in Loop: Header=BB12_49 Depth=1
	s_or_b64 exec, exec, s[20:21]
	v_accvgpr_read_b32 v15, a22
	v_lshlrev_b32_e32 v13, 16, v30
	v_lshlrev_b32_e32 v15, 16, v15
	v_mul_f32_e32 v15, v15, v13
	v_and_b32_e32 v13, 0x7f800000, v15
	v_cmp_ne_u32_e32 vcc, s72, v13
                                        ; implicit-def: $vgpr13
	s_and_saveexec_b64 s[20:21], vcc
	s_xor_b64 s[20:21], exec, s[20:21]
; %bb.805:                              ;   in Loop: Header=BB12_49 Depth=1
	v_bfe_u32 v13, v15, 16, 1
	v_add3_u32 v13, v15, v13, s73
                                        ; implicit-def: $vgpr15
; %bb.806:                              ;   in Loop: Header=BB12_49 Depth=1
	s_andn2_saveexec_b64 s[20:21], s[20:21]
; %bb.807:                              ;   in Loop: Header=BB12_49 Depth=1
	v_or_b32_e32 v13, 0x10000, v15
	v_cmp_eq_u32_sdwa vcc, v15, v31 src0_sel:WORD_0 src1_sel:DWORD
	s_nop 1
	v_cndmask_b32_e32 v13, v13, v15, vcc
; %bb.808:                              ;   in Loop: Header=BB12_49 Depth=1
	s_or_b64 exec, exec, s[20:21]
	v_accvgpr_read_b32 v16, a21
	v_lshlrev_b32_e32 v15, 16, v27
	v_lshlrev_b32_e32 v16, 16, v16
	v_mul_f32_e32 v16, v16, v15
	v_and_b32_e32 v15, 0x7f800000, v16
	v_cmp_ne_u32_e32 vcc, s72, v15
                                        ; implicit-def: $vgpr15
	s_and_saveexec_b64 s[20:21], vcc
	s_xor_b64 s[20:21], exec, s[20:21]
; %bb.809:                              ;   in Loop: Header=BB12_49 Depth=1
	v_bfe_u32 v15, v16, 16, 1
	v_add3_u32 v15, v16, v15, s73
                                        ; implicit-def: $vgpr16
; %bb.810:                              ;   in Loop: Header=BB12_49 Depth=1
	s_andn2_saveexec_b64 s[20:21], s[20:21]
; %bb.811:                              ;   in Loop: Header=BB12_49 Depth=1
	v_or_b32_e32 v15, 0x10000, v16
	v_cmp_eq_u32_sdwa vcc, v16, v31 src0_sel:WORD_0 src1_sel:DWORD
	s_nop 1
	v_cndmask_b32_e32 v15, v15, v16, vcc
; %bb.812:                              ;   in Loop: Header=BB12_49 Depth=1
	s_or_b64 exec, exec, s[20:21]
	v_accvgpr_read_b32 v18, a20
	v_lshlrev_b32_e32 v16, 16, v24
	v_lshlrev_b32_e32 v18, 16, v18
	v_mul_f32_e32 v18, v18, v16
	v_and_b32_e32 v16, 0x7f800000, v18
	v_cmp_ne_u32_e32 vcc, s72, v16
                                        ; implicit-def: $vgpr16
	s_and_saveexec_b64 s[20:21], vcc
	s_xor_b64 s[20:21], exec, s[20:21]
; %bb.813:                              ;   in Loop: Header=BB12_49 Depth=1
	v_bfe_u32 v16, v18, 16, 1
	v_add3_u32 v16, v18, v16, s73
                                        ; implicit-def: $vgpr18
; %bb.814:                              ;   in Loop: Header=BB12_49 Depth=1
	s_andn2_saveexec_b64 s[20:21], s[20:21]
; %bb.815:                              ;   in Loop: Header=BB12_49 Depth=1
	v_or_b32_e32 v16, 0x10000, v18
	v_cmp_eq_u32_sdwa vcc, v18, v31 src0_sel:WORD_0 src1_sel:DWORD
	s_nop 1
	v_cndmask_b32_e32 v16, v16, v18, vcc
; %bb.816:                              ;   in Loop: Header=BB12_49 Depth=1
	s_or_b64 exec, exec, s[20:21]
	v_accvgpr_read_b32 v19, a14
	v_lshlrev_b32_e32 v18, 16, v20
	v_lshlrev_b32_e32 v19, 16, v19
	v_mul_f32_e32 v19, v19, v18
	v_and_b32_e32 v18, 0x7f800000, v19
	v_cmp_ne_u32_e32 vcc, s72, v18
                                        ; implicit-def: $vgpr18
	s_and_saveexec_b64 s[20:21], vcc
	s_xor_b64 s[20:21], exec, s[20:21]
; %bb.817:                              ;   in Loop: Header=BB12_49 Depth=1
	v_bfe_u32 v18, v19, 16, 1
	v_add3_u32 v18, v19, v18, s73
                                        ; implicit-def: $vgpr19
; %bb.818:                              ;   in Loop: Header=BB12_49 Depth=1
	s_andn2_saveexec_b64 s[20:21], s[20:21]
; %bb.819:                              ;   in Loop: Header=BB12_49 Depth=1
	v_or_b32_e32 v18, 0x10000, v19
	v_cmp_eq_u32_sdwa vcc, v19, v31 src0_sel:WORD_0 src1_sel:DWORD
	s_nop 1
	v_cndmask_b32_e32 v18, v18, v19, vcc
; %bb.820:                              ;   in Loop: Header=BB12_49 Depth=1
	s_or_b64 exec, exec, s[20:21]
	v_accvgpr_read_b32 v19, a12
	v_lshlrev_b32_e32 v17, 16, v17
	v_lshlrev_b32_e32 v19, 16, v19
	v_mul_f32_e32 v19, v19, v17
	v_and_b32_e32 v17, 0x7f800000, v19
	v_cmp_ne_u32_e32 vcc, s72, v17
                                        ; implicit-def: $vgpr17
	s_and_saveexec_b64 s[20:21], vcc
	s_xor_b64 s[20:21], exec, s[20:21]
; %bb.821:                              ;   in Loop: Header=BB12_49 Depth=1
	v_bfe_u32 v17, v19, 16, 1
	v_add3_u32 v17, v19, v17, s73
                                        ; implicit-def: $vgpr19
; %bb.822:                              ;   in Loop: Header=BB12_49 Depth=1
	s_andn2_saveexec_b64 s[20:21], s[20:21]
; %bb.823:                              ;   in Loop: Header=BB12_49 Depth=1
	v_or_b32_e32 v17, 0x10000, v19
	v_cmp_eq_u32_sdwa vcc, v19, v31 src0_sel:WORD_0 src1_sel:DWORD
	s_nop 1
	v_cndmask_b32_e32 v17, v17, v19, vcc
; %bb.824:                              ;   in Loop: Header=BB12_49 Depth=1
	s_or_b64 exec, exec, s[20:21]
	v_accvgpr_read_b32 v19, a7
	v_lshlrev_b32_e32 v14, 16, v14
	v_lshlrev_b32_e32 v19, 16, v19
	v_mul_f32_e32 v19, v19, v14
	v_and_b32_e32 v14, 0x7f800000, v19
	v_cmp_ne_u32_e32 vcc, s72, v14
                                        ; implicit-def: $vgpr14
	s_and_saveexec_b64 s[20:21], vcc
	s_xor_b64 s[20:21], exec, s[20:21]
; %bb.825:                              ;   in Loop: Header=BB12_49 Depth=1
	v_bfe_u32 v14, v19, 16, 1
	v_add3_u32 v14, v19, v14, s73
                                        ; implicit-def: $vgpr19
; %bb.826:                              ;   in Loop: Header=BB12_49 Depth=1
	s_andn2_saveexec_b64 s[20:21], s[20:21]
; %bb.827:                              ;   in Loop: Header=BB12_49 Depth=1
	v_or_b32_e32 v14, 0x10000, v19
	v_cmp_eq_u32_sdwa vcc, v19, v31 src0_sel:WORD_0 src1_sel:DWORD
	s_nop 1
	v_cndmask_b32_e32 v14, v14, v19, vcc
; %bb.828:                              ;   in Loop: Header=BB12_49 Depth=1
	s_or_b64 exec, exec, s[20:21]
	v_accvgpr_read_b32 v19, a6
	v_lshlrev_b32_e32 v12, 16, v12
	v_lshlrev_b32_e32 v19, 16, v19
	v_mul_f32_e32 v19, v19, v12
	v_and_b32_e32 v12, 0x7f800000, v19
	v_cmp_ne_u32_e32 vcc, s72, v12
                                        ; implicit-def: $vgpr12
	s_and_saveexec_b64 s[20:21], vcc
	s_xor_b64 s[20:21], exec, s[20:21]
; %bb.829:                              ;   in Loop: Header=BB12_49 Depth=1
	v_bfe_u32 v12, v19, 16, 1
	v_add3_u32 v12, v19, v12, s73
                                        ; implicit-def: $vgpr19
; %bb.830:                              ;   in Loop: Header=BB12_49 Depth=1
	s_andn2_saveexec_b64 s[20:21], s[20:21]
; %bb.831:                              ;   in Loop: Header=BB12_49 Depth=1
	v_or_b32_e32 v12, 0x10000, v19
	v_cmp_eq_u32_sdwa vcc, v19, v31 src0_sel:WORD_0 src1_sel:DWORD
	s_nop 1
	v_cndmask_b32_e32 v12, v12, v19, vcc
; %bb.832:                              ;   in Loop: Header=BB12_49 Depth=1
	s_or_b64 exec, exec, s[20:21]
	flat_store_short_d16_hi v[0:1], v2 nt
	flat_store_short_d16_hi v[0:1], v3 offset:128 nt
	flat_store_short_d16_hi v[0:1], v4 offset:256 nt
	;; [unrolled: 1-line block ×15, first 2 shown]
.LBB12_833:                             ;   in Loop: Header=BB12_49 Depth=1
	s_or_b64 exec, exec, s[18:19]
	scratch_load_dwordx2 v[14:15], off, s33 offset:356 ; 8-byte Folded Reload
	scratch_load_dwordx2 v[16:17], off, s33 offset:364 ; 8-byte Folded Reload
	v_accvgpr_read_b32 v0, a5
	v_lshlrev_b32_e32 v0, 11, v0
	v_cmp_ne_u32_e32 vcc, v45, v0
	v_accvgpr_read_b32 v4, a62
	s_and_b64 s[18:19], exec, vcc
	v_accvgpr_read_b32 v5, a63
	v_accvgpr_read_b32 v7, a0
	;; [unrolled: 1-line block ×3, first 2 shown]
	s_mov_b64 exec, s[18:19]
	s_cbranch_execz .LBB12_859
; %bb.834:                              ;   in Loop: Header=BB12_49 Depth=1
	v_lshlrev_b32_e32 v1, 6, v6
	v_sub_u32_e32 v1, v2, v1
	v_ashrrev_i32_e32 v2, 31, v1
	v_lshrrev_b32_e32 v2, 26, v2
	v_add_u32_e32 v2, v1, v2
	v_and_b32_e32 v3, 0x7fffffc0, v2
	v_sub_u32_e32 v1, v1, v3
	v_lshlrev_b32_e32 v2, 1, v2
	v_and_b32_e32 v2, 0xffffff80, v2
	v_lshlrev_b32_e32 v1, 1, v1
	v_add3_u32 v0, v2, v1, v0
	v_add_u32_e32 v2, v0, v7
	v_sub_u32_e32 v8, v45, v0
	v_ashrrev_i32_e32 v3, 31, v2
	v_lshl_add_u64 v[0:1], v[2:3], 0, v[4:5]
	v_cmp_lt_i32_e32 vcc, 1, v8
	s_mov_b64 s[18:19], 0
	s_and_saveexec_b64 s[52:53], vcc
	s_cbranch_execz .LBB12_853
; %bb.835:                              ;   in Loop: Header=BB12_49 Depth=1
	s_trap 2
	ds_read_b128 v[4:7], v0
	s_mov_b64 s[58:59], 0
	s_mov_b64 s[54:55], 0
                                        ; implicit-def: $sgpr56_sgpr57
	s_waitcnt lgkmcnt(0)
	v_lshl_add_u64 v[4:5], v[4:5], 0, v[2:3]
	v_lshl_add_u64 v[2:3], v[6:7], 0, v[2:3]
	s_branch .LBB12_837
.LBB12_836:                             ;   in Loop: Header=BB12_837 Depth=2
	s_or_b64 exec, exec, s[18:19]
	v_lshrrev_b32_e32 v6, 16, v9
	scratch_store_short off, v6, s33 offset:192
	flat_store_short v[0:1], v6 nt
	v_lshl_add_u64 v[6:7], v[4:5], 0, v[14:15]
	v_cndmask_b32_e64 v4, v4, v6, s[58:59]
	v_cndmask_b32_e64 v6, 0, v54, s[58:59]
	v_sub_u32_e32 v8, v8, v6
	v_cmp_gt_i32_e32 vcc, 2, v8
	s_or_b64 s[54:55], vcc, s[54:55]
	v_lshl_add_u64 v[10:11], v[2:3], 0, v[14:15]
	v_cndmask_b32_e64 v13, 0, v17, s[58:59]
	v_cndmask_b32_e64 v12, v40, v16, s[58:59]
	s_andn2_b64 s[18:19], s[56:57], exec
	s_and_b64 s[20:21], s[58:59], exec
	v_lshl_add_u64 v[0:1], v[0:1], 0, v[12:13]
	v_cndmask_b32_e64 v3, v3, v11, s[58:59]
	v_cndmask_b32_e64 v2, v2, v10, s[58:59]
	;; [unrolled: 1-line block ×3, first 2 shown]
	s_or_b64 s[56:57], s[18:19], s[20:21]
	s_andn2_b64 exec, exec, s[54:55]
	s_cbranch_execz .LBB12_852
.LBB12_837:                             ;   Parent Loop BB12_49 Depth=1
                                        ; =>  This Loop Header: Depth=2
                                        ;       Child Loop BB12_838 Depth 3
                                        ;       Child Loop BB12_847 Depth 3
	s_add_i32 s18, s33, 0xc0
	v_mov_b32_e32 v6, s18
	s_mov_b64 s[60:61], -1
	s_mov_b64 s[62:63], 0
.LBB12_838:                             ;   Parent Loop BB12_49 Depth=1
                                        ;     Parent Loop BB12_837 Depth=2
                                        ; =>    This Inner Loop Header: Depth=3
	s_cmp_eq_u32 s62, 1
	s_cselect_b64 vcc, -1, 0
	v_cndmask_b32_e32 v11, v5, v3, vcc
	v_cndmask_b32_e32 v10, v4, v2, vcc
	flat_load_ushort v7, v[10:11] nt
	s_cmp_eq_u32 s62, 0
	v_lshl_add_u64 v[10:11], v[10:11], 0, s[44:45]
	s_cselect_b64 s[18:19], -1, 0
	s_and_b64 s[20:21], exec, s[60:61]
	v_cndmask_b32_e64 v5, v5, v11, s[18:19]
	v_cndmask_b32_e64 v4, v4, v10, s[18:19]
	s_add_i32 s18, s33, 0xe0
	s_mov_b64 s[62:63], 1
	s_mov_b64 s[60:61], 0
	v_cndmask_b32_e32 v3, v3, v11, vcc
	v_cndmask_b32_e32 v2, v2, v10, vcc
	s_mov_b64 vcc, s[20:21]
	s_waitcnt vmcnt(0) lgkmcnt(0)
	scratch_store_short v6, v7, off
	v_mov_b32_e32 v6, s18
	s_cbranch_vccnz .LBB12_838
; %bb.839:                              ;   in Loop: Header=BB12_837 Depth=2
	s_and_saveexec_b64 s[18:19], s[58:59]
	s_cbranch_execz .LBB12_845
; %bb.840:                              ;   in Loop: Header=BB12_837 Depth=2
	scratch_load_ushort v6, off, s33 offset:190
	scratch_load_ushort v7, off, s33 offset:188
                                        ; implicit-def: $vgpr9
	s_waitcnt vmcnt(1)
	v_lshlrev_b32_e32 v6, 16, v6
	s_waitcnt vmcnt(0)
	v_lshlrev_b32_e32 v10, 16, v7
	v_pk_mul_f32 v[6:7], v[6:7], v[10:11] op_sel_hi:[0,1]
	v_and_b32_e32 v7, 0x7f800000, v6
	v_cmp_ne_u32_e32 vcc, s72, v7
	s_and_saveexec_b64 s[20:21], vcc
	s_xor_b64 s[20:21], exec, s[20:21]
; %bb.841:                              ;   in Loop: Header=BB12_837 Depth=2
	v_bfe_u32 v7, v6, 16, 1
	v_add3_u32 v9, v6, v7, s73
                                        ; implicit-def: $vgpr6_vgpr7
; %bb.842:                              ;   in Loop: Header=BB12_837 Depth=2
	s_andn2_saveexec_b64 s[20:21], s[20:21]
; %bb.843:                              ;   in Loop: Header=BB12_837 Depth=2
	v_or_b32_e32 v7, 0x10000, v6
	v_cmp_eq_u32_sdwa vcc, v6, v31 src0_sel:WORD_0 src1_sel:DWORD
	s_nop 1
	v_cndmask_b32_e32 v9, v7, v6, vcc
; %bb.844:                              ;   in Loop: Header=BB12_837 Depth=2
	s_or_b64 exec, exec, s[20:21]
	v_lshrrev_b32_e32 v6, 16, v9
	scratch_store_short off, v6, s33 offset:188
	flat_store_short v[0:1], v6 nt
	v_lshl_add_u64 v[0:1], v[0:1], 0, v[16:17]
.LBB12_845:                             ;   in Loop: Header=BB12_837 Depth=2
	s_or_b64 exec, exec, s[18:19]
	v_sub_u32_e32 v8, v8, v54
	v_lshl_add_u64 v[4:5], v[4:5], 0, v[14:15]
	v_lshl_add_u64 v[2:3], v[2:3], 0, v[14:15]
	v_cmp_lt_i32_e64 s[58:59], 1, v8
	s_and_saveexec_b64 s[60:61], s[58:59]
	s_cbranch_execz .LBB12_848
; %bb.846:                              ;   in Loop: Header=BB12_837 Depth=2
	s_add_i32 s18, s33, 0xbc
	v_mov_b32_e32 v6, s18
	s_mov_b64 s[64:65], 0
	s_mov_b64 s[62:63], -1
.LBB12_847:                             ;   Parent Loop BB12_49 Depth=1
                                        ;     Parent Loop BB12_837 Depth=2
                                        ; =>    This Inner Loop Header: Depth=3
	s_cmp_eq_u32 s64, 1
	s_cselect_b64 vcc, -1, 0
	v_cndmask_b32_e32 v11, v5, v3, vcc
	v_cndmask_b32_e32 v10, v4, v2, vcc
	flat_load_ushort v7, v[10:11] nt
	s_cmp_eq_u32 s64, 0
	v_lshl_add_u64 v[10:11], v[10:11], 0, s[44:45]
	s_cselect_b64 s[18:19], -1, 0
	s_and_b64 s[20:21], exec, s[62:63]
	v_cndmask_b32_e64 v5, v5, v11, s[18:19]
	v_cndmask_b32_e64 v4, v4, v10, s[18:19]
	s_add_i32 s18, s33, 0xbe
	s_mov_b64 s[64:65], 1
	s_mov_b64 s[62:63], 0
	v_cndmask_b32_e32 v3, v3, v11, vcc
	v_cndmask_b32_e32 v2, v2, v10, vcc
	s_mov_b64 vcc, s[20:21]
	s_waitcnt vmcnt(0) lgkmcnt(0)
	scratch_store_short v6, v7, off
	v_mov_b32_e32 v6, s18
	s_cbranch_vccnz .LBB12_847
.LBB12_848:                             ;   in Loop: Header=BB12_837 Depth=2
	s_or_b64 exec, exec, s[60:61]
	scratch_load_ushort v6, off, s33 offset:224
	scratch_load_ushort v7, off, s33 offset:192
                                        ; implicit-def: $vgpr9
	s_waitcnt vmcnt(0)
	v_lshlrev_b32_e32 v6, 16, v6
	v_lshlrev_b32_e32 v10, 16, v7
	v_pk_mul_f32 v[6:7], v[6:7], v[10:11] op_sel_hi:[0,1]
	v_and_b32_e32 v7, 0x7f800000, v6
	v_cmp_ne_u32_e32 vcc, s72, v7
	s_and_saveexec_b64 s[18:19], vcc
	s_xor_b64 s[18:19], exec, s[18:19]
; %bb.849:                              ;   in Loop: Header=BB12_837 Depth=2
	v_bfe_u32 v7, v6, 16, 1
	v_add3_u32 v9, v6, v7, s73
                                        ; implicit-def: $vgpr6_vgpr7
; %bb.850:                              ;   in Loop: Header=BB12_837 Depth=2
	s_andn2_saveexec_b64 s[18:19], s[18:19]
	s_cbranch_execz .LBB12_836
; %bb.851:                              ;   in Loop: Header=BB12_837 Depth=2
	v_or_b32_e32 v7, 0x10000, v6
	v_cmp_eq_u32_sdwa vcc, v6, v31 src0_sel:WORD_0 src1_sel:DWORD
	s_nop 1
	v_cndmask_b32_e32 v9, v7, v6, vcc
	s_branch .LBB12_836
.LBB12_852:                             ;   in Loop: Header=BB12_49 Depth=1
	s_or_b64 exec, exec, s[54:55]
	s_and_b64 s[18:19], s[56:57], exec
.LBB12_853:                             ;   in Loop: Header=BB12_49 Depth=1
	s_or_b64 exec, exec, s[52:53]
	s_and_b64 exec, exec, s[18:19]
	s_cbranch_execz .LBB12_859
; %bb.854:                              ;   in Loop: Header=BB12_49 Depth=1
	scratch_load_ushort v2, off, s33 offset:190
	scratch_load_ushort v3, off, s33 offset:188
	s_waitcnt vmcnt(0)
	v_lshlrev_b32_e32 v2, 16, v2
	v_lshlrev_b32_e32 v4, 16, v3
	v_pk_mul_f32 v[2:3], v[2:3], v[4:5] op_sel_hi:[0,1]
	v_and_b32_e32 v3, 0x7f800000, v2
	v_cmp_ne_u32_e32 vcc, s72, v3
                                        ; implicit-def: $vgpr4
	s_and_saveexec_b64 s[18:19], vcc
	s_xor_b64 s[18:19], exec, s[18:19]
; %bb.855:                              ;   in Loop: Header=BB12_49 Depth=1
	v_bfe_u32 v3, v2, 16, 1
	v_add3_u32 v4, v2, v3, s73
                                        ; implicit-def: $vgpr2_vgpr3
; %bb.856:                              ;   in Loop: Header=BB12_49 Depth=1
	s_andn2_saveexec_b64 s[18:19], s[18:19]
; %bb.857:                              ;   in Loop: Header=BB12_49 Depth=1
	v_or_b32_e32 v3, 0x10000, v2
	v_cmp_eq_u32_sdwa vcc, v2, v31 src0_sel:WORD_0 src1_sel:DWORD
	s_nop 1
	v_cndmask_b32_e32 v4, v3, v2, vcc
; %bb.858:                              ;   in Loop: Header=BB12_49 Depth=1
	s_or_b64 exec, exec, s[18:19]
	flat_store_short_d16_hi v[0:1], v4 nt
.LBB12_859:                             ;   in Loop: Header=BB12_49 Depth=1
	s_or_b64 exec, exec, s[22:23]
	s_waitcnt vmcnt(0)
	v_cmp_ne_u32_e64 s[18:19], 0, v25
.LBB12_860:                             ;   in Loop: Header=BB12_49 Depth=1
	s_and_saveexec_b64 s[20:21], s[6:7]
	s_cbranch_execz .LBB12_879
; %bb.861:                              ;   in Loop: Header=BB12_49 Depth=1
	s_and_saveexec_b64 s[22:23], s[34:35]
	s_xor_b64 s[22:23], exec, s[22:23]
	s_cbranch_execz .LBB12_876
; %bb.862:                              ;   in Loop: Header=BB12_49 Depth=1
	s_and_saveexec_b64 s[52:53], s[10:11]
	s_cbranch_execz .LBB12_875
; %bb.863:                              ;   in Loop: Header=BB12_49 Depth=1
	s_mov_b64 s[56:57], exec
	v_mbcnt_lo_u32_b32 v0, s56, 0
	v_mbcnt_hi_u32_b32 v0, s57, v0
	v_cmp_eq_u32_e32 vcc, 0, v0
	s_waitcnt lgkmcnt(0)
	s_and_saveexec_b64 s[54:55], vcc
	s_cbranch_execz .LBB12_865
; %bb.864:                              ;   in Loop: Header=BB12_49 Depth=1
	s_bcnt1_i32_b64 vcc_lo, s[56:57]
	v_mov_b32_e32 v30, vcc_lo
	ds_add_u64 v0, v[30:31]
	s_trap 2
.LBB12_865:                             ;   in Loop: Header=BB12_49 Depth=1
	s_or_b64 exec, exec, s[54:55]
	s_trap 2
	ds_read_b64 v[0:1], v0
	v_accvgpr_read_b32 v2, a36
	v_accvgpr_read_b32 v5, a3
	;; [unrolled: 1-line block ×4, first 2 shown]
	v_lshl_add_u64 v[2:3], v[2:3], 0, v[4:5]
	v_accvgpr_write_b32 a37, v3
	v_accvgpr_write_b32 a36, v2
	s_waitcnt lgkmcnt(0)
	v_cmp_lt_u64_e32 vcc, v[0:1], v[2:3]
	s_and_saveexec_b64 s[54:55], vcc
	s_cbranch_execz .LBB12_874
; %bb.866:                              ;   in Loop: Header=BB12_49 Depth=1
	s_mov_b32 s66, 0
	s_mov_b64 s[56:57], 0
                                        ; implicit-def: $sgpr58_sgpr59
                                        ; implicit-def: $sgpr60_sgpr61
	s_branch .LBB12_868
.LBB12_867:                             ;   in Loop: Header=BB12_868 Depth=2
	s_or_b64 exec, exec, s[64:65]
	s_and_b64 vcc, exec, vcc
	s_or_b64 s[56:57], vcc, s[56:57]
	s_andn2_b64 vcc, s[58:59], exec
	s_and_b64 s[58:59], s[60:61], exec
	s_or_b64 s[58:59], vcc, s[58:59]
	s_andn2_b64 exec, exec, s[56:57]
	s_cbranch_execz .LBB12_872
.LBB12_868:                             ;   Parent Loop BB12_49 Depth=1
                                        ; =>  This Inner Loop Header: Depth=2
	s_add_i32 s66, s66, 1
	s_cmpk_lg_i32 s66, 0x2710
	s_cselect_b64 s[62:63], -1, 0
	s_and_b64 vcc, exec, s[62:63]
                                        ; implicit-def: $sgpr64_sgpr65
	s_cbranch_vccnz .LBB12_870
; %bb.869:                              ;   in Loop: Header=BB12_868 Depth=2
	s_trap 2
	ds_read_b64 v[0:1], v0
	s_andn2_b64 s[62:63], s[62:63], exec
	s_mov_b32 s66, 0
	s_mov_b64 s[64:65], -1
	s_waitcnt vmcnt(0) lgkmcnt(0)
	flat_load_dword v0, v[0:1] sc0 sc1
	s_waitcnt vmcnt(0) lgkmcnt(0)
	buffer_inv sc0 sc1
	v_cmp_eq_u32_e32 vcc, 0, v0
	s_and_b64 vcc, vcc, exec
	s_or_b64 s[62:63], s[62:63], vcc
.LBB12_870:                             ;   in Loop: Header=BB12_868 Depth=2
	s_andn2_b64 s[60:61], s[60:61], exec
	s_and_b64 s[64:65], s[64:65], exec
	s_mov_b64 vcc, -1
	s_or_b64 s[60:61], s[60:61], s[64:65]
	s_and_saveexec_b64 s[64:65], s[62:63]
	s_cbranch_execz .LBB12_867
; %bb.871:                              ;   in Loop: Header=BB12_868 Depth=2
	s_sleep 1
	s_trap 2
	ds_read_b64 v[0:1], v0
	v_accvgpr_read_b32 v2, a36
	v_accvgpr_read_b32 v3, a37
	s_andn2_b64 s[60:61], s[60:61], exec
	s_waitcnt lgkmcnt(0)
	v_cmp_ge_u64_e32 vcc, v[0:1], v[2:3]
	s_orn2_b64 vcc, vcc, exec
	s_branch .LBB12_867
.LBB12_872:                             ;   in Loop: Header=BB12_49 Depth=1
	s_or_b64 exec, exec, s[56:57]
	s_and_saveexec_b64 vcc, s[58:59]
	s_xor_b64 vcc, exec, vcc
	s_cbranch_execz .LBB12_874
; %bb.873:                              ;   in Loop: Header=BB12_49 Depth=1
	ds_write_b32 v0, v55
	s_trap 2
.LBB12_874:                             ;   in Loop: Header=BB12_49 Depth=1
	s_or_b64 exec, exec, s[54:55]
	;;#ASMSTART
	s_wakeup
	;;#ASMEND
.LBB12_875:                             ;   in Loop: Header=BB12_49 Depth=1
	s_or_b64 exec, exec, s[52:53]
.LBB12_876:                             ;   in Loop: Header=BB12_49 Depth=1
	s_andn2_saveexec_b64 s[22:23], s[22:23]
	s_cbranch_execz .LBB12_878
; %bb.877:                              ;   in Loop: Header=BB12_49 Depth=1
	s_waitcnt lgkmcnt(0)
	s_barrier
.LBB12_878:                             ;   in Loop: Header=BB12_49 Depth=1
	s_or_b64 exec, exec, s[22:23]
.LBB12_879:                             ;   in Loop: Header=BB12_49 Depth=1
	s_or_b64 exec, exec, s[20:21]
	v_accvgpr_read_b32 v0, a15
	v_and_b32_e32 v0, 16, v0
	v_cmp_ne_u32_e32 vcc, 0, v0
	s_and_b64 s[20:21], vcc, s[18:19]
	s_and_saveexec_b64 s[18:19], s[20:21]
	s_cbranch_execz .LBB12_881
; %bb.880:                              ;   in Loop: Header=BB12_49 Depth=1
	buffer_wbl2 sc1
	s_waitcnt vmcnt(0) lgkmcnt(0)
	buffer_inv sc1
.LBB12_881:                             ;   in Loop: Header=BB12_49 Depth=1
	s_or_b64 exec, exec, s[18:19]
	v_cmp_ne_u32_e32 vcc, 0, v0
	s_xor_b64 s[18:19], s[16:17], -1
	s_and_b64 s[20:21], vcc, s[18:19]
	s_and_saveexec_b64 s[18:19], s[20:21]
	s_cbranch_execz .LBB12_883
; %bb.882:                              ;   in Loop: Header=BB12_49 Depth=1
	v_accvgpr_read_b32 v0, a40
	v_accvgpr_read_b32 v1, a41
	flat_store_dword v[0:1], v55 sc0 sc1
.LBB12_883:                             ;   in Loop: Header=BB12_49 Depth=1
	s_or_b64 exec, exec, s[18:19]
	v_accvgpr_read_b32 v0, a15
	v_and_b32_e32 v0, 48, v0
	v_cmp_ne_u32_e32 vcc, 0, v0
	s_and_saveexec_b64 s[18:19], vcc
	s_cbranch_execz .LBB12_885
; %bb.884:                              ;   in Loop: Header=BB12_49 Depth=1
	v_accvgpr_read_b32 v0, a24
	v_accvgpr_read_b32 v2, a26
	;; [unrolled: 1-line block ×3, first 2 shown]
	v_lshl_add_u64 v[2:3], v[2:3], 0, 1
	v_accvgpr_read_b32 v1, a25
	v_accvgpr_write_b32 a27, v3
	v_accvgpr_write_b32 a26, v2
	;; [unrolled: 1-line block ×4, first 2 shown]
	v_accvgpr_read_b32 v0, a28
	v_accvgpr_read_b32 v1, a29
	flat_store_dwordx2 v[0:1], v[2:3] sc0 sc1
.LBB12_885:                             ;   in Loop: Header=BB12_49 Depth=1
	s_or_b64 exec, exec, s[18:19]
	v_mov_b32_e32 v4, v47
.LBB12_886:                             ;   in Loop: Header=BB12_49 Depth=1
	s_or_b64 exec, exec, s[50:51]
	s_and_saveexec_b64 s[20:21], s[48:49]
	s_cbranch_execz .LBB12_48
; %bb.887:                              ;   in Loop: Header=BB12_49 Depth=1
	v_accvgpr_read_b32 v0, a15
	v_and_b32_e32 v0, 12, v0
	v_cmp_ne_u32_e32 vcc, 0, v0
	v_accvgpr_read_b32 v0, a24
	v_accvgpr_read_b32 v2, a26
	;; [unrolled: 1-line block ×3, first 2 shown]
	s_mov_b64 s[22:23], -1
	v_lshl_add_u64 v[2:3], v[2:3], 0, 1
	v_accvgpr_read_b32 v1, a25
	s_and_saveexec_b64 s[18:19], vcc
	s_cbranch_execz .LBB12_899
; %bb.888:                              ;   in Loop: Header=BB12_49 Depth=1
	v_accvgpr_read_b32 v0, a15
	v_and_b32_e32 v30, 8, v0
	v_accvgpr_read_b32 v0, a34
	s_waitcnt lgkmcnt(0)
	v_accvgpr_read_b32 v8, a24
	v_accvgpr_read_b32 v1, a35
	v_accvgpr_read_b32 v10, a26
	v_accvgpr_read_b32 v11, a27
	v_lshl_add_u64 v[6:7], v[0:1], 0, v[30:31]
	v_lshl_add_u64 v[0:1], v[10:11], 0, 1
	v_cmp_lt_u64_e32 vcc, v[6:7], v[0:1]
	v_mov_b32_e32 v5, 1
	v_accvgpr_read_b32 v9, a25
	s_and_saveexec_b64 s[22:23], vcc
	s_cbranch_execz .LBB12_898
; %bb.889:                              ;   in Loop: Header=BB12_49 Depth=1
	s_mov_b64 s[48:49], 0
	v_mov_b32_e32 v5, 0
                                        ; implicit-def: $sgpr50_sgpr51
	s_branch .LBB12_893
.LBB12_890:                             ;   in Loop: Header=BB12_893 Depth=2
	s_or_b64 exec, exec, s[58:59]
	v_mov_b32_e32 v6, 0
	s_orn2_b64 s[56:57], s[56:57], exec
.LBB12_891:                             ;   in Loop: Header=BB12_893 Depth=2
	s_or_b64 exec, exec, s[54:55]
	s_andn2_b64 vcc, s[50:51], exec
	s_and_b64 s[50:51], s[56:57], exec
	s_or_b64 s[50:51], vcc, s[50:51]
	v_mov_b32_e32 v5, v6
.LBB12_892:                             ;   in Loop: Header=BB12_893 Depth=2
	s_or_b64 exec, exec, s[52:53]
	s_waitcnt vmcnt(0) lgkmcnt(0)
	v_accvgpr_read_b32 v6, a34
	v_accvgpr_read_b32 v7, a35
	v_lshl_add_u64 v[6:7], v[6:7], 0, v[30:31]
	v_cmp_ge_u64_e32 vcc, v[6:7], v[0:1]
	s_xor_b64 s[52:53], s[50:51], -1
	s_or_b64 vcc, s[52:53], vcc
	s_and_b64 vcc, exec, vcc
	s_or_b64 s[48:49], vcc, s[48:49]
	s_andn2_b64 exec, exec, s[48:49]
	s_cbranch_execz .LBB12_897
.LBB12_893:                             ;   Parent Loop BB12_49 Depth=1
                                        ; =>  This Inner Loop Header: Depth=2
	v_accvgpr_read_b32 v6, a28
	v_accvgpr_read_b32 v7, a29
	s_sleep 1
	flat_load_dwordx2 a[34:35], v[6:7] sc0 sc1
	v_accvgpr_read_b32 v6, a15
	v_and_b32_e32 v6, 64, v6
	v_cmp_eq_u32_e32 vcc, 0, v6
	s_andn2_b64 s[50:51], s[50:51], exec
	s_and_saveexec_b64 s[52:53], vcc
	s_cbranch_execz .LBB12_892
; %bb.894:                              ;   in Loop: Header=BB12_893 Depth=2
	v_add_u32_e32 v6, 1, v5
	v_cmp_lt_i32_e32 vcc, s70, v5
	s_mov_b64 s[56:57], -1
	s_and_saveexec_b64 s[54:55], vcc
	s_cbranch_execz .LBB12_891
; %bb.895:                              ;   in Loop: Header=BB12_893 Depth=2
	s_trap 2
	ds_read_b64 v[6:7], v0
	s_waitcnt vmcnt(0) lgkmcnt(0)
	flat_load_dword v5, v[6:7] sc0 sc1
	s_waitcnt vmcnt(0) lgkmcnt(0)
	buffer_inv sc0 sc1
	v_cmp_ne_u32_e32 vcc, 0, v5
	s_and_saveexec_b64 s[58:59], vcc
	s_cbranch_execz .LBB12_890
; %bb.896:                              ;   in Loop: Header=BB12_893 Depth=2
	v_accvgpr_read_b32 v6, a15
	v_or_b32_e32 v6, 64, v6
	v_accvgpr_write_b32 a15, v6
	s_xor_b64 s[56:57], exec, -1
	ds_write_b32 v0, v5
	s_trap 2
	s_branch .LBB12_890
.LBB12_897:                             ;   in Loop: Header=BB12_49 Depth=1
	s_or_b64 exec, exec, s[48:49]
	v_accvgpr_read_b32 v0, a15
	v_and_b32_e32 v5, 12, v0
.LBB12_898:                             ;   in Loop: Header=BB12_49 Depth=1
	s_or_b64 exec, exec, s[22:23]
	v_cmp_eq_u32_e32 vcc, 0, v5
	s_orn2_b64 s[22:23], vcc, exec
	;;#ASMSTART
	s_wakeup
	;;#ASMEND
.LBB12_899:                             ;   in Loop: Header=BB12_49 Depth=1
	s_or_b64 exec, exec, s[18:19]
	v_sub_u32_e32 v0, v44, v4
	s_xor_b64 s[18:19], s[22:23], -1
	v_min_i32_e32 v0, v47, v0
	s_and_saveexec_b64 s[22:23], s[18:19]
	s_cbranch_execz .LBB12_911
; %bb.900:                              ;   in Loop: Header=BB12_49 Depth=1
	v_accvgpr_read_b32 v1, a15
	v_accvgpr_read_b32 v4, a24
	v_and_b32_e32 v1, 0x108, v1
	v_accvgpr_read_b32 v6, a26
	v_cmp_ne_u32_e32 vcc, s71, v1
	v_and_b32_e32 v4, 7, v6
	v_accvgpr_read_b32 v5, a25
	s_and_saveexec_b64 s[18:19], vcc
	s_xor_b64 s[18:19], exec, s[18:19]
	s_andn2_saveexec_b64 s[18:19], s[18:19]
	s_cbranch_execz .LBB12_902
; %bb.901:                              ;   in Loop: Header=BB12_49 Depth=1
	v_accvgpr_read_b32 v6, a24
	v_accvgpr_read_b32 v7, a25
	v_ashrrev_i32_e32 v1, 31, v0
	v_mad_u64_u32 v[6:7], vcc, v4, 24, v[6:7]
	s_waitcnt lgkmcnt(0)
	v_lshlrev_b64 v[8:9], 1, v[0:1]
	flat_store_dwordx2 v[6:7], v[8:9] offset:8
.LBB12_902:                             ;   in Loop: Header=BB12_49 Depth=1
	s_or_b64 exec, exec, s[18:19]
	v_accvgpr_read_b32 v1, a15
	v_and_b32_e32 v1, 0x100, v1
	v_cmp_ne_u32_e32 vcc, 0, v1
	s_mov_b64 s[18:19], -1
                                        ; implicit-def: $vgpr6_vgpr7
	s_and_saveexec_b64 s[48:49], vcc
	s_cbranch_execz .LBB12_906
; %bb.903:                              ;   in Loop: Header=BB12_49 Depth=1
	v_accvgpr_read_b32 v6, a24
	v_accvgpr_read_b32 v7, a25
	s_waitcnt lgkmcnt(0)
	v_mad_u64_u32 v[8:9], s[18:19], v4, 24, v[6:7]
	v_mov_b32_e32 v6, v9
	v_mad_u64_u32 v[6:7], s[18:19], v31, 24, v[6:7]
	v_mov_b32_e32 v9, v6
	flat_load_dword v1, v[8:9]
                                        ; implicit-def: $vgpr6_vgpr7
	s_waitcnt vmcnt(0) lgkmcnt(0)
	v_cmp_ne_u32_e32 vcc, 1, v1
	v_cmp_eq_u32_e64 s[18:19], 1, v1
	s_and_saveexec_b64 s[50:51], s[18:19]
	s_cbranch_execz .LBB12_905
; %bb.904:                              ;   in Loop: Header=BB12_49 Depth=1
	flat_load_dword v6, v[8:9] offset:4 sc0 sc1
	s_waitcnt vmcnt(0) lgkmcnt(0)
	v_ashrrev_i32_e32 v7, 31, v6
	v_lshrrev_b64 v[6:7], 1, v[6:7]
.LBB12_905:                             ;   in Loop: Header=BB12_49 Depth=1
	s_or_b64 exec, exec, s[50:51]
	s_orn2_b64 s[18:19], vcc, exec
.LBB12_906:                             ;   in Loop: Header=BB12_49 Depth=1
	s_or_b64 exec, exec, s[48:49]
	s_and_saveexec_b64 vcc, s[18:19]
	s_cbranch_execz .LBB12_908
; %bb.907:                              ;   in Loop: Header=BB12_49 Depth=1
	scratch_load_dwordx2 v[6:7], off, s33 offset:256 ; 8-byte Folded Reload
	s_waitcnt lgkmcnt(0)
	scratch_load_dwordx2 v[8:9], off, s33 offset:296 ; 8-byte Folded Reload
	s_waitcnt vmcnt(0)
	v_mul_lo_u32 v1, v31, v6
	v_mul_lo_u32 v5, v4, v9
	v_mad_u64_u32 v[6:7], s[18:19], v4, v6, 0
	v_add3_u32 v7, v7, v5, v1
.LBB12_908:                             ;   in Loop: Header=BB12_49 Depth=1
	s_or_b64 exec, exec, vcc
	v_accvgpr_read_b32 v4, a32
	v_accvgpr_read_b32 v1, a15
	;; [unrolled: 1-line block ×3, first 2 shown]
	v_and_b32_e32 v1, 0x2000, v1
	v_lshl_add_u64 v[4:5], v[6:7], 1, v[4:5]
	v_cmp_ne_u32_e32 vcc, 0, v1
	s_trap 2
	ds_write_b64 v0, v[4:5]
	s_and_saveexec_b64 s[18:19], vcc
	s_cbranch_execz .LBB12_910
; %bb.909:                              ;   in Loop: Header=BB12_49 Depth=1
	ds_read_b64 v[4:5], v0 offset:584
	s_waitcnt lgkmcnt(0)
	v_lshl_add_u64 v[4:5], v[4:5], 0, 1
	ds_write_b64 v0, v[4:5] offset:584
.LBB12_910:                             ;   in Loop: Header=BB12_49 Depth=1
	s_or_b64 exec, exec, s[18:19]
	v_accvgpr_write_b32 a27, v3
	v_accvgpr_write_b32 a26, v2
.LBB12_911:                             ;   in Loop: Header=BB12_49 Depth=1
	s_or_b64 exec, exec, s[22:23]
	s_and_saveexec_b64 s[18:19], s[6:7]
	s_cbranch_execz .LBB12_930
; %bb.912:                              ;   in Loop: Header=BB12_49 Depth=1
	s_and_saveexec_b64 s[22:23], s[34:35]
	s_xor_b64 s[22:23], exec, s[22:23]
	s_cbranch_execz .LBB12_927
; %bb.913:                              ;   in Loop: Header=BB12_49 Depth=1
	s_and_saveexec_b64 s[48:49], s[10:11]
	s_cbranch_execz .LBB12_926
; %bb.914:                              ;   in Loop: Header=BB12_49 Depth=1
	s_mov_b64 s[52:53], exec
	v_mbcnt_lo_u32_b32 v1, s52, 0
	v_mbcnt_hi_u32_b32 v1, s53, v1
	v_cmp_eq_u32_e32 vcc, 0, v1
	s_waitcnt lgkmcnt(0)
	s_and_saveexec_b64 s[50:51], vcc
	s_cbranch_execz .LBB12_916
; %bb.915:                              ;   in Loop: Header=BB12_49 Depth=1
	s_bcnt1_i32_b64 vcc_lo, s[52:53]
	v_mov_b32_e32 v30, vcc_lo
	ds_add_u64 v0, v[30:31]
	s_trap 2
.LBB12_916:                             ;   in Loop: Header=BB12_49 Depth=1
	s_or_b64 exec, exec, s[50:51]
	s_trap 2
	ds_read_b64 v[2:3], v0
	v_accvgpr_read_b32 v4, a36
	v_accvgpr_read_b32 v7, a3
	;; [unrolled: 1-line block ×4, first 2 shown]
	v_lshl_add_u64 v[4:5], v[4:5], 0, v[6:7]
	v_accvgpr_write_b32 a37, v5
	v_accvgpr_write_b32 a36, v4
	s_waitcnt lgkmcnt(0)
	v_cmp_lt_u64_e32 vcc, v[2:3], v[4:5]
	s_and_saveexec_b64 s[50:51], vcc
	s_cbranch_execz .LBB12_925
; %bb.917:                              ;   in Loop: Header=BB12_49 Depth=1
	s_mov_b32 s62, 0
	s_mov_b64 s[52:53], 0
                                        ; implicit-def: $sgpr54_sgpr55
                                        ; implicit-def: $sgpr56_sgpr57
	s_branch .LBB12_919
.LBB12_918:                             ;   in Loop: Header=BB12_919 Depth=2
	s_or_b64 exec, exec, s[60:61]
	s_and_b64 vcc, exec, vcc
	s_or_b64 s[52:53], vcc, s[52:53]
	s_andn2_b64 vcc, s[54:55], exec
	s_and_b64 s[54:55], s[56:57], exec
	s_or_b64 s[54:55], vcc, s[54:55]
	s_andn2_b64 exec, exec, s[52:53]
	s_cbranch_execz .LBB12_923
.LBB12_919:                             ;   Parent Loop BB12_49 Depth=1
                                        ; =>  This Inner Loop Header: Depth=2
	s_add_i32 s62, s62, 1
	s_cmpk_lg_i32 s62, 0x2710
	s_cselect_b64 s[58:59], -1, 0
	s_and_b64 vcc, exec, s[58:59]
                                        ; implicit-def: $sgpr60_sgpr61
	s_cbranch_vccnz .LBB12_921
; %bb.920:                              ;   in Loop: Header=BB12_919 Depth=2
	s_trap 2
	ds_read_b64 v[2:3], v0
	s_andn2_b64 s[58:59], s[58:59], exec
	s_mov_b32 s62, 0
	s_mov_b64 s[60:61], -1
	s_waitcnt vmcnt(0) lgkmcnt(0)
	flat_load_dword v1, v[2:3] sc0 sc1
	s_waitcnt vmcnt(0) lgkmcnt(0)
	buffer_inv sc0 sc1
	v_cmp_eq_u32_e32 vcc, 0, v1
	s_and_b64 vcc, vcc, exec
	s_or_b64 s[58:59], s[58:59], vcc
.LBB12_921:                             ;   in Loop: Header=BB12_919 Depth=2
	s_andn2_b64 s[56:57], s[56:57], exec
	s_and_b64 s[60:61], s[60:61], exec
	s_mov_b64 vcc, -1
	s_or_b64 s[56:57], s[56:57], s[60:61]
	s_and_saveexec_b64 s[60:61], s[58:59]
	s_cbranch_execz .LBB12_918
; %bb.922:                              ;   in Loop: Header=BB12_919 Depth=2
	s_sleep 1
	s_trap 2
	ds_read_b64 v[2:3], v0
	v_accvgpr_read_b32 v4, a36
	v_accvgpr_read_b32 v5, a37
	s_andn2_b64 s[56:57], s[56:57], exec
	s_waitcnt lgkmcnt(0)
	v_cmp_ge_u64_e32 vcc, v[2:3], v[4:5]
	s_orn2_b64 vcc, vcc, exec
	s_branch .LBB12_918
.LBB12_923:                             ;   in Loop: Header=BB12_49 Depth=1
	s_or_b64 exec, exec, s[52:53]
	s_and_saveexec_b64 vcc, s[54:55]
	s_xor_b64 vcc, exec, vcc
	s_cbranch_execz .LBB12_925
; %bb.924:                              ;   in Loop: Header=BB12_49 Depth=1
	ds_write_b32 v0, v55
	s_trap 2
.LBB12_925:                             ;   in Loop: Header=BB12_49 Depth=1
	s_or_b64 exec, exec, s[50:51]
	;;#ASMSTART
	s_wakeup
	;;#ASMEND
.LBB12_926:                             ;   in Loop: Header=BB12_49 Depth=1
	s_or_b64 exec, exec, s[48:49]
.LBB12_927:                             ;   in Loop: Header=BB12_49 Depth=1
	s_andn2_saveexec_b64 s[22:23], s[22:23]
	s_cbranch_execz .LBB12_929
; %bb.928:                              ;   in Loop: Header=BB12_49 Depth=1
	s_waitcnt lgkmcnt(0)
	s_barrier
.LBB12_929:                             ;   in Loop: Header=BB12_49 Depth=1
	s_or_b64 exec, exec, s[22:23]
.LBB12_930:                             ;   in Loop: Header=BB12_49 Depth=1
	s_or_b64 exec, exec, s[18:19]
	s_trap 2
	ds_read_b32 v1, v0
	v_cmp_lt_i32_e32 vcc, 0, v0
	v_accvgpr_read_b32 v0, a15
	v_and_b32_e32 v0, 16, v0
	s_waitcnt lgkmcnt(0)
	v_readfirstlane_b32 s18, v1
	s_cmp_eq_u32 s18, 0
	s_cselect_b64 s[18:19], -1, 0
	s_and_b64 s[18:19], vcc, s[18:19]
	v_cmp_ne_u32_e32 vcc, 0, v0
	s_and_b64 s[22:23], vcc, s[18:19]
	s_and_saveexec_b64 s[18:19], s[22:23]
	s_cbranch_execz .LBB12_932
; %bb.931:                              ;   in Loop: Header=BB12_49 Depth=1
	buffer_wbl2 sc1
	s_waitcnt vmcnt(0)
	buffer_inv sc1
.LBB12_932:                             ;   in Loop: Header=BB12_49 Depth=1
	s_or_b64 exec, exec, s[18:19]
	v_cmp_ne_u32_e32 vcc, 0, v0
	s_xor_b64 s[18:19], s[16:17], -1
	s_and_b64 s[22:23], vcc, s[18:19]
	s_and_saveexec_b64 s[18:19], s[22:23]
	s_cbranch_execz .LBB12_934
; %bb.933:                              ;   in Loop: Header=BB12_49 Depth=1
	v_accvgpr_read_b32 v0, a40
	v_accvgpr_read_b32 v1, a41
	flat_store_dword v[0:1], v55 sc0 sc1
.LBB12_934:                             ;   in Loop: Header=BB12_49 Depth=1
	s_or_b64 exec, exec, s[18:19]
	v_accvgpr_read_b32 v0, a15
	v_and_b32_e32 v0, 48, v0
	v_cmp_ne_u32_e32 vcc, 0, v0
	s_and_saveexec_b64 s[18:19], vcc
	s_cbranch_execz .LBB12_47
; %bb.935:                              ;   in Loop: Header=BB12_49 Depth=1
	v_accvgpr_read_b32 v0, a24
	v_accvgpr_read_b32 v2, a26
	;; [unrolled: 1-line block ×3, first 2 shown]
	v_lshl_add_u64 v[2:3], v[2:3], 0, 1
	v_accvgpr_read_b32 v1, a25
	v_accvgpr_write_b32 a27, v3
	v_accvgpr_write_b32 a26, v2
	;; [unrolled: 1-line block ×4, first 2 shown]
	v_accvgpr_read_b32 v0, a28
	v_accvgpr_read_b32 v1, a29
	flat_store_dwordx2 v[0:1], v[2:3] sc0 sc1
	s_branch .LBB12_47
.LBB12_936:
	s_or_b64 exec, exec, s[40:41]
.LBB12_937:
	s_or_b64 exec, exec, s[30:31]
                                        ; implicit-def: $vgpr0_vgpr1
                                        ; kill: killed $vgpr0_vgpr1
                                        ; implicit-def: $agpr16_agpr17
                                        ; implicit-def: $agpr34_agpr35
                                        ; implicit-def: $agpr32_agpr33
                                        ; implicit-def: $agpr28_agpr29
                                        ; implicit-def: $vgpr9
                                        ; implicit-def: $agpr38_agpr39
                                        ; implicit-def: $vgpr0
	scratch_store_dwordx2 off, v[0:1], s33 offset:256 ; 8-byte Folded Spill
                                        ; implicit-def: $vgpr0
.LBB12_938:
	s_andn2_saveexec_b64 s[20:21], s[28:29]
	s_cbranch_execz .LBB12_1824
; %bb.939:
	v_mov_b64_e32 v[2:3], 0
	v_accvgpr_write_b32 a37, v3
	v_accvgpr_write_b32 a36, v2
	s_and_saveexec_b64 s[22:23], s[2:3]
	s_cbranch_execz .LBB12_1823
; %bb.940:
	scratch_load_dword v2, off, s33 offset:280 ; 4-byte Folded Reload
	s_trap 2
	scratch_load_dword v1, off, s33 offset:304 ; 4-byte Folded Reload
	s_lshr_b32 s2, s68, 27
	s_add_i32 s2, s68, s2
	s_ashr_i32 s64, s2, 5
	s_mov_b64 s[30:31], 0x1000
	s_add_i32 s14, s33, 0xe0
	s_mov_b64 s[34:35], 0x400
	s_mov_b64 s[36:37], 0x800
	v_mov_b64_e32 v[56:57], 0
	s_mov_b64 s[38:39], 0x80
	v_accvgpr_write_b32 a36, v56
	s_mov_b64 s[40:41], 0
	s_movk_i32 s65, 0x270e
	s_mov_b32 s66, 0x7f800000
	s_movk_i32 s67, 0x7fff
	s_mov_b32 s69, 0xffff0000
	v_mov_b32_e32 v55, 0x80
	v_accvgpr_write_b32 a37, v57
	s_waitcnt vmcnt(0)
	v_cmp_ge_i32_e64 s[2:3], v0, v2
	v_cmp_eq_u32_e32 vcc, 64, v2
	v_cmp_ne_u32_sdwa s[28:29], v1, v2 src0_sel:WORD_0 src1_sel:DWORD
	scratch_load_dword v1, off, s33 offset:292 ; 4-byte Folded Reload
	v_cmp_ne_u32_e64 s[4:5], 64, v2
	v_lshrrev_b32_e32 v4, 6, v2
	v_ashrrev_i32_e32 v2, 31, v0
	v_lshrrev_b32_e32 v2, 26, v2
	v_add_u32_e32 v2, v0, v2
	v_ashrrev_i32_e32 v48, 6, v2
	v_and_b32_e32 v2, 0xffffffc0, v2
	v_sub_u32_e32 v49, v0, v2
	v_lshlrev_b32_e32 v0, 4, v49
	v_lshl_add_u32 v2, v48, 12, v0
	v_ashrrev_i32_e32 v3, 31, v2
	v_mov_b32_e32 v0, 0xfffff000
	scratch_store_dwordx2 off, v[2:3], s33 offset:340 ; 8-byte Folded Spill
	v_lshl_add_u32 v2, v4, 12, v0
	v_ashrrev_i32_e32 v3, 31, v2
	scratch_store_dwordx2 off, v[2:3], s33 offset:264 ; 8-byte Folded Spill
	v_lshl_add_u64 v[2:3], v[2:3], 0, s[30:31]
	v_accvgpr_write_b32 a9, v3
	v_lshlrev_b32_e32 v53, 10, v4
	v_accvgpr_write_b32 a8, v2
	v_mov_b32_e32 v0, s14
	s_add_i32 s14, s33, 0xc0
	v_add_u32_e32 v2, 0xfffffc00, v53
	v_add_u32_e32 v50, 16, v0
	v_mov_b32_e32 v0, s14
	v_ashrrev_i32_e32 v3, 31, v2
	v_add_u32_e32 v51, 16, v0
	scratch_store_dwordx2 off, v[2:3], s33 offset:384 ; 8-byte Folded Spill
	v_lshl_add_u64 v[2:3], v[2:3], 0, s[34:35]
	v_mov_b32_e32 v0, 0xfffff800
	scratch_store_dwordx2 off, v[2:3], s33 offset:392 ; 8-byte Folded Spill
	v_lshl_add_u32 v2, v4, 11, v0
	v_ashrrev_i32_e32 v3, 31, v2
	v_accvgpr_write_b32 a45, v3
	v_accvgpr_write_b32 a44, v2
	v_lshl_add_u64 v[2:3], v[2:3], 0, s[36:37]
	v_lshlrev_b32_e32 v54, 7, v4
	v_accvgpr_write_b32 a47, v3
	v_add_u32_e32 v42, 0xffffff80, v54
	v_accvgpr_write_b32 a46, v2
	v_ashrrev_i32_e32 v43, 31, v42
	v_accvgpr_read_b32 v2, a16
	s_waitcnt lgkmcnt(0)
	v_cmp_le_i32_e64 s[10:11], v49, v9
	v_cmp_gt_i32_e64 s[12:13], 1, v49
	v_lshl_add_u64 v[44:45], v[42:43], 0, s[38:39]
	s_xor_b64 s[42:43], vcc, -1
	v_accvgpr_read_b32 v3, a17
	scratch_store_dword off, v48, s33 offset:364 ; 4-byte Folded Spill
	scratch_store_dword off, v49, s33 offset:380 ; 4-byte Folded Spill
	;; [unrolled: 1-line block ×6, first 2 shown]
	scratch_store_dwordx2 off, v[42:43], s33 offset:308 ; 8-byte Folded Spill
	scratch_store_dwordx2 off, v[44:45], s33 offset:316 ; 8-byte Folded Spill
	s_waitcnt vmcnt(12)
	v_and_b32_e32 v1, 63, v1
	v_cmp_eq_u32_e64 s[6:7], 0, v1
	v_mov_b32_e32 v1, 0
	v_mov_b32_e32 v5, v1
	v_accvgpr_write_b32 a0, v4
	v_accvgpr_write_b32 a1, v5
	v_accvgpr_read_b32 v4, a38
	v_accvgpr_read_b32 v5, a39
	s_branch .LBB12_943
.LBB12_941:                             ;   in Loop: Header=BB12_943 Depth=1
	s_or_b64 exec, exec, s[14:15]
.LBB12_942:                             ;   in Loop: Header=BB12_943 Depth=1
	s_or_b64 exec, exec, s[16:17]
	v_accvgpr_read_b32 v4, a38
	v_accvgpr_read_b32 v5, a39
	;; [unrolled: 1-line block ×3, first 2 shown]
	v_lshl_add_u64 v[56:57], v[56:57], 0, v[4:5]
	v_accvgpr_read_b32 v3, a17
	v_cmp_ge_u64_e32 vcc, v[56:57], v[2:3]
	s_or_b64 s[40:41], vcc, s[40:41]
	s_andn2_b64 exec, exec, s[40:41]
	s_cbranch_execz .LBB12_1822
.LBB12_943:                             ; =>This Loop Header: Depth=1
                                        ;     Child Loop BB12_954 Depth 2
                                        ;     Child Loop BB12_976 Depth 2
	;; [unrolled: 1-line block ×5, first 2 shown]
                                        ;       Child Loop BB12_1412 Depth 3
                                        ;       Child Loop BB12_1449 Depth 3
                                        ;     Child Loop BB12_1526 Depth 2
                                        ;     Child Loop BB12_1729 Depth 2
                                        ;       Child Loop BB12_1730 Depth 3
                                        ;       Child Loop BB12_1739 Depth 3
                                        ;     Child Loop BB12_1760 Depth 2
                                        ;     Child Loop BB12_1785 Depth 2
	;; [unrolled: 1-line block ×3, first 2 shown]
	v_sub_co_u32_e32 v2, vcc, v2, v56
	v_mov_b32_e32 v8, 0
	s_nop 0
	v_subb_co_u32_e32 v3, vcc, v3, v57, vcc
	v_cmp_lt_u64_e32 vcc, v[4:5], v[2:3]
	s_nop 1
	v_cndmask_b32_e64 v3, v3, 0, vcc
	v_cndmask_b32_e32 v2, v2, v4, vcc
	v_add_u32_e32 v0, 15, v2
	v_cmp_eq_u64_e32 vcc, 0, v[2:3]
	v_and_b32_e32 v0, 0x3ffffff0, v0
	s_or_b64 s[44:45], s[2:3], vcc
	v_max_i32_e32 v40, s64, v0
	v_accvgpr_write_b32 a56, v2
	s_xor_b64 s[14:15], s[44:45], -1
	s_and_saveexec_b64 s[46:47], s[14:15]
	s_cbranch_execz .LBB12_1776
; %bb.944:                              ;   in Loop: Header=BB12_943 Depth=1
	s_and_saveexec_b64 s[14:15], s[0:1]
	s_cbranch_execz .LBB12_946
; %bb.945:                              ;   in Loop: Header=BB12_943 Depth=1
	s_trap 2
	scratch_load_dwordx2 v[6:7], off, s33 offset:272 ; 8-byte Folded Reload
	ds_read2_b64 v[2:5], v0 offset1:1
	ds_read_b64 v[8:9], v0
	s_waitcnt lgkmcnt(0)
	v_cmp_ne_u64_e32 vcc, 0, v[8:9]
	s_waitcnt vmcnt(0)
	v_lshl_add_u64 v[6:7], v[56:57], 0, v[6:7]
	v_lshlrev_b64 v[6:7], 1, v[6:7]
	v_lshl_add_u64 v[2:3], v[2:3], 0, v[6:7]
	ds_write_b64 v0, v[2:3]
	v_lshl_add_u64 v[2:3], v[4:5], 0, v[6:7]
	ds_write_b64 v0, v[2:3]
	v_lshl_add_u64 v[2:3], v[8:9], 0, v[6:7]
	v_cndmask_b32_e32 v3, 0, v3, vcc
	v_cndmask_b32_e32 v2, 0, v2, vcc
	ds_write_b64 v0, v[2:3]
.LBB12_946:                             ;   in Loop: Header=BB12_943 Depth=1
	s_or_b64 exec, exec, s[14:15]
	v_accvgpr_read_b32 v0, a15
	v_accvgpr_read_b32 v2, a24
	v_and_b32_e32 v0, 4, v0
	v_accvgpr_read_b32 v3, a25
	v_accvgpr_read_b32 v4, a26
	;; [unrolled: 1-line block ×3, first 2 shown]
	v_cmp_ne_u32_e32 vcc, 0, v0
	s_mov_b64 s[16:17], -1
	v_lshl_add_u64 v[2:3], v[4:5], 0, 1
	s_and_saveexec_b64 s[14:15], vcc
	s_cbranch_execnz .LBB12_949
; %bb.947:                              ;   in Loop: Header=BB12_943 Depth=1
	s_or_b64 exec, exec, s[14:15]
	s_xor_b64 s[14:15], s[16:17], -1
	s_and_saveexec_b64 s[16:17], s[14:15]
	s_cbranch_execnz .LBB12_960
.LBB12_948:                             ;   in Loop: Header=BB12_943 Depth=1
	s_or_b64 exec, exec, s[16:17]
	s_and_saveexec_b64 s[14:15], s[4:5]
	s_cbranch_execnz .LBB12_969
	s_branch .LBB12_987
.LBB12_949:                             ;   in Loop: Header=BB12_943 Depth=1
	v_accvgpr_read_b32 v4, a24
	v_accvgpr_read_b32 v5, a25
	;; [unrolled: 1-line block ×4, first 2 shown]
	v_lshl_add_u64 v[4:5], v[6:7], 0, 1
	v_accvgpr_read_b32 v6, a34
	v_accvgpr_read_b32 v7, a35
	v_cmp_lt_u64_e32 vcc, v[6:7], v[4:5]
	v_mov_b32_e32 v0, 1
	s_and_saveexec_b64 s[16:17], vcc
	s_cbranch_execz .LBB12_959
; %bb.950:                              ;   in Loop: Header=BB12_943 Depth=1
	s_mov_b64 s[18:19], 0
	v_mov_b32_e32 v0, 0
                                        ; implicit-def: $sgpr48_sgpr49
	s_branch .LBB12_954
.LBB12_951:                             ;   in Loop: Header=BB12_954 Depth=2
	s_or_b64 exec, exec, s[56:57]
	v_mov_b32_e32 v6, 0
	s_orn2_b64 s[54:55], s[54:55], exec
.LBB12_952:                             ;   in Loop: Header=BB12_954 Depth=2
	s_or_b64 exec, exec, s[52:53]
	s_andn2_b64 vcc, s[48:49], exec
	s_and_b64 s[48:49], s[54:55], exec
	s_or_b64 s[48:49], vcc, s[48:49]
	v_mov_b32_e32 v0, v6
.LBB12_953:                             ;   in Loop: Header=BB12_954 Depth=2
	s_or_b64 exec, exec, s[50:51]
	s_waitcnt vmcnt(0) lgkmcnt(0)
	v_accvgpr_read_b32 v6, a34
	v_accvgpr_read_b32 v7, a35
	v_cmp_ge_u64_e32 vcc, v[6:7], v[4:5]
	s_xor_b64 s[50:51], s[48:49], -1
	s_or_b64 vcc, s[50:51], vcc
	s_and_b64 vcc, exec, vcc
	s_or_b64 s[18:19], vcc, s[18:19]
	s_andn2_b64 exec, exec, s[18:19]
	s_cbranch_execz .LBB12_958
.LBB12_954:                             ;   Parent Loop BB12_943 Depth=1
                                        ; =>  This Inner Loop Header: Depth=2
	v_accvgpr_read_b32 v6, a28
	v_accvgpr_read_b32 v7, a29
	s_sleep 1
	flat_load_dwordx2 a[34:35], v[6:7] sc0 sc1
	v_accvgpr_read_b32 v6, a15
	v_and_b32_e32 v6, 64, v6
	v_cmp_eq_u32_e32 vcc, 0, v6
	s_andn2_b64 s[48:49], s[48:49], exec
	s_and_saveexec_b64 s[50:51], vcc
	s_cbranch_execz .LBB12_953
; %bb.955:                              ;   in Loop: Header=BB12_954 Depth=2
	v_add_u32_e32 v6, 1, v0
	v_cmp_lt_i32_e32 vcc, s65, v0
	s_mov_b64 s[54:55], -1
	s_and_saveexec_b64 s[52:53], vcc
	s_cbranch_execz .LBB12_952
; %bb.956:                              ;   in Loop: Header=BB12_954 Depth=2
	s_trap 2
	ds_read_b64 v[6:7], v0
	s_waitcnt vmcnt(0) lgkmcnt(0)
	flat_load_dword v0, v[6:7] sc0 sc1
	s_waitcnt vmcnt(0) lgkmcnt(0)
	buffer_inv sc0 sc1
	v_cmp_ne_u32_e32 vcc, 0, v0
	s_and_saveexec_b64 s[56:57], vcc
	s_cbranch_execz .LBB12_951
; %bb.957:                              ;   in Loop: Header=BB12_954 Depth=2
	v_accvgpr_read_b32 v6, a15
	v_or_b32_e32 v6, 64, v6
	v_accvgpr_write_b32 a15, v6
	s_xor_b64 s[54:55], exec, -1
	ds_write_b32 v0, v0
	s_trap 2
	s_branch .LBB12_951
.LBB12_958:                             ;   in Loop: Header=BB12_943 Depth=1
	s_or_b64 exec, exec, s[18:19]
	v_accvgpr_read_b32 v0, a15
	v_and_b32_e32 v0, 4, v0
.LBB12_959:                             ;   in Loop: Header=BB12_943 Depth=1
	s_or_b64 exec, exec, s[16:17]
	v_cmp_eq_u32_e32 vcc, 0, v0
	s_orn2_b64 s[16:17], vcc, exec
	;;#ASMSTART
	s_wakeup
	;;#ASMEND
	s_or_b64 exec, exec, s[14:15]
	s_xor_b64 s[14:15], s[16:17], -1
	s_and_saveexec_b64 s[16:17], s[14:15]
	s_cbranch_execz .LBB12_948
.LBB12_960:                             ;   in Loop: Header=BB12_943 Depth=1
	v_accvgpr_read_b32 v0, a15
	v_accvgpr_read_b32 v4, a24
	v_and_b32_e32 v0, 0x100, v0
	v_accvgpr_read_b32 v6, a26
	v_cmp_ne_u32_e32 vcc, 0, v0
	v_accvgpr_read_b32 v5, a25
	v_and_b32_e32 v0, 7, v6
	s_mov_b64 s[14:15], -1
                                        ; implicit-def: $vgpr4_vgpr5
	s_and_saveexec_b64 s[18:19], vcc
	s_cbranch_execz .LBB12_964
; %bb.961:                              ;   in Loop: Header=BB12_943 Depth=1
	v_accvgpr_read_b32 v4, a24
	v_accvgpr_read_b32 v5, a25
	v_mad_u64_u32 v[6:7], s[14:15], v0, 24, v[4:5]
	flat_load_dword v4, v[6:7]
	s_waitcnt vmcnt(0) lgkmcnt(0)
	v_cmp_ne_u32_e32 vcc, 1, v4
	v_cmp_eq_u32_e64 s[14:15], 1, v4
                                        ; implicit-def: $vgpr4_vgpr5
	s_and_saveexec_b64 s[48:49], s[14:15]
	s_cbranch_execz .LBB12_963
; %bb.962:                              ;   in Loop: Header=BB12_943 Depth=1
	flat_load_dword v4, v[6:7] offset:4 sc0 sc1
	s_waitcnt vmcnt(0) lgkmcnt(0)
	v_ashrrev_i32_e32 v5, 31, v4
	v_lshrrev_b64 v[4:5], 1, v[4:5]
.LBB12_963:                             ;   in Loop: Header=BB12_943 Depth=1
	s_or_b64 exec, exec, s[48:49]
	s_orn2_b64 s[14:15], vcc, exec
.LBB12_964:                             ;   in Loop: Header=BB12_943 Depth=1
	s_or_b64 exec, exec, s[18:19]
	s_and_saveexec_b64 s[18:19], s[14:15]
	s_cbranch_execz .LBB12_966
; %bb.965:                              ;   in Loop: Header=BB12_943 Depth=1
	scratch_load_dwordx2 v[4:5], off, s33 offset:256 ; 8-byte Folded Reload
	s_waitcnt vmcnt(0)
	v_mad_i64_i32 v[4:5], s[14:15], v0, v4, 0
.LBB12_966:                             ;   in Loop: Header=BB12_943 Depth=1
	s_or_b64 exec, exec, s[18:19]
	v_accvgpr_read_b32 v6, a32
	v_accvgpr_read_b32 v7, a33
	v_lshl_add_u64 v[4:5], v[4:5], 1, v[6:7]
	ds_write_b64 v0, v[4:5] offset:728
	v_accvgpr_read_b32 v0, a15
	v_and_b32_e32 v0, 0x2000, v0
	v_cmp_ne_u32_e32 vcc, 0, v0
	s_and_saveexec_b64 s[14:15], vcc
	s_cbranch_execz .LBB12_968
; %bb.967:                              ;   in Loop: Header=BB12_943 Depth=1
	ds_read_b64 v[4:5], v0 offset:584
	s_waitcnt lgkmcnt(0)
	v_lshl_add_u64 v[4:5], v[4:5], 0, 1
	ds_write_b64 v0, v[4:5] offset:584
.LBB12_968:                             ;   in Loop: Header=BB12_943 Depth=1
	s_or_b64 exec, exec, s[14:15]
	v_accvgpr_write_b32 a27, v3
	v_accvgpr_write_b32 a26, v2
	s_or_b64 exec, exec, s[16:17]
	s_and_saveexec_b64 s[14:15], s[4:5]
	s_cbranch_execz .LBB12_987
.LBB12_969:                             ;   in Loop: Header=BB12_943 Depth=1
	s_and_saveexec_b64 s[16:17], s[28:29]
	s_xor_b64 s[16:17], exec, s[16:17]
	s_cbranch_execz .LBB12_984
; %bb.970:                              ;   in Loop: Header=BB12_943 Depth=1
	s_and_saveexec_b64 s[18:19], s[6:7]
	s_cbranch_execz .LBB12_983
; %bb.971:                              ;   in Loop: Header=BB12_943 Depth=1
	s_mov_b64 s[50:51], exec
	v_mbcnt_lo_u32_b32 v0, s50, 0
	v_mbcnt_hi_u32_b32 v0, s51, v0
	v_cmp_eq_u32_e32 vcc, 0, v0
	s_waitcnt lgkmcnt(0)
	s_and_saveexec_b64 s[48:49], vcc
	s_cbranch_execz .LBB12_973
; %bb.972:                              ;   in Loop: Header=BB12_943 Depth=1
	s_bcnt1_i32_b64 vcc_lo, s[50:51]
	v_mov_b32_e32 v0, vcc_lo
	ds_add_u64 v0, v[0:1]
	s_trap 2
.LBB12_973:                             ;   in Loop: Header=BB12_943 Depth=1
	s_or_b64 exec, exec, s[48:49]
	s_trap 2
	ds_read_b64 v[2:3], v0
	v_accvgpr_read_b32 v4, a36
	v_accvgpr_read_b32 v7, a1
	;; [unrolled: 1-line block ×4, first 2 shown]
	v_lshl_add_u64 v[4:5], v[4:5], 0, v[6:7]
	v_accvgpr_write_b32 a37, v5
	v_accvgpr_write_b32 a36, v4
	s_waitcnt lgkmcnt(0)
	v_cmp_lt_u64_e32 vcc, v[2:3], v[4:5]
	s_and_saveexec_b64 s[48:49], vcc
	s_cbranch_execz .LBB12_982
; %bb.974:                              ;   in Loop: Header=BB12_943 Depth=1
	s_mov_b32 s60, 0
	s_mov_b64 s[50:51], 0
                                        ; implicit-def: $sgpr52_sgpr53
                                        ; implicit-def: $sgpr54_sgpr55
	s_branch .LBB12_976
.LBB12_975:                             ;   in Loop: Header=BB12_976 Depth=2
	s_or_b64 exec, exec, s[58:59]
	s_and_b64 vcc, exec, vcc
	s_or_b64 s[50:51], vcc, s[50:51]
	s_andn2_b64 vcc, s[52:53], exec
	s_and_b64 s[52:53], s[54:55], exec
	s_or_b64 s[52:53], vcc, s[52:53]
	s_andn2_b64 exec, exec, s[50:51]
	s_cbranch_execz .LBB12_980
.LBB12_976:                             ;   Parent Loop BB12_943 Depth=1
                                        ; =>  This Inner Loop Header: Depth=2
	s_add_i32 s60, s60, 1
	s_cmpk_lg_i32 s60, 0x2710
	s_cselect_b64 s[56:57], -1, 0
	s_and_b64 vcc, exec, s[56:57]
                                        ; implicit-def: $sgpr58_sgpr59
	s_cbranch_vccnz .LBB12_978
; %bb.977:                              ;   in Loop: Header=BB12_976 Depth=2
	s_trap 2
	ds_read_b64 v[2:3], v0
	s_andn2_b64 s[56:57], s[56:57], exec
	s_mov_b32 s60, 0
	s_mov_b64 s[58:59], -1
	s_waitcnt vmcnt(0) lgkmcnt(0)
	flat_load_dword v0, v[2:3] sc0 sc1
	s_waitcnt vmcnt(0) lgkmcnt(0)
	buffer_inv sc0 sc1
	v_cmp_eq_u32_e32 vcc, 0, v0
	s_and_b64 vcc, vcc, exec
	s_or_b64 s[56:57], s[56:57], vcc
.LBB12_978:                             ;   in Loop: Header=BB12_976 Depth=2
	s_andn2_b64 s[54:55], s[54:55], exec
	s_and_b64 s[58:59], s[58:59], exec
	s_mov_b64 vcc, -1
	s_or_b64 s[54:55], s[54:55], s[58:59]
	s_and_saveexec_b64 s[58:59], s[56:57]
	s_cbranch_execz .LBB12_975
; %bb.979:                              ;   in Loop: Header=BB12_976 Depth=2
	s_sleep 1
	s_trap 2
	ds_read_b64 v[2:3], v0
	v_accvgpr_read_b32 v4, a36
	v_accvgpr_read_b32 v5, a37
	s_andn2_b64 s[54:55], s[54:55], exec
	s_waitcnt lgkmcnt(0)
	v_cmp_ge_u64_e32 vcc, v[2:3], v[4:5]
	s_orn2_b64 vcc, vcc, exec
	s_branch .LBB12_975
.LBB12_980:                             ;   in Loop: Header=BB12_943 Depth=1
	s_or_b64 exec, exec, s[50:51]
	s_and_saveexec_b64 vcc, s[52:53]
	s_xor_b64 vcc, exec, vcc
	s_cbranch_execz .LBB12_982
; %bb.981:                              ;   in Loop: Header=BB12_943 Depth=1
	v_mov_b32_e32 v0, 1
	ds_write_b32 v0, v0
	s_trap 2
.LBB12_982:                             ;   in Loop: Header=BB12_943 Depth=1
	s_or_b64 exec, exec, s[48:49]
	;;#ASMSTART
	s_wakeup
	;;#ASMEND
.LBB12_983:                             ;   in Loop: Header=BB12_943 Depth=1
	s_or_b64 exec, exec, s[18:19]
.LBB12_984:                             ;   in Loop: Header=BB12_943 Depth=1
	s_andn2_saveexec_b64 s[16:17], s[16:17]
	s_cbranch_execz .LBB12_986
; %bb.985:                              ;   in Loop: Header=BB12_943 Depth=1
	s_waitcnt lgkmcnt(0)
	s_barrier
.LBB12_986:                             ;   in Loop: Header=BB12_943 Depth=1
	s_or_b64 exec, exec, s[16:17]
.LBB12_987:                             ;   in Loop: Header=BB12_943 Depth=1
	s_or_b64 exec, exec, s[14:15]
	s_trap 2
	ds_read_b32 v2, v0
	v_accvgpr_read_b32 v0, a15
	v_and_b32_e32 v0, 0x4000, v0
	v_cmp_ne_u32_e32 vcc, 0, v0
	s_and_b64 s[16:17], s[42:43], vcc
	s_and_saveexec_b64 s[14:15], s[16:17]
	s_cbranch_execz .LBB12_1006
; %bb.988:                              ;   in Loop: Header=BB12_943 Depth=1
	s_and_saveexec_b64 s[16:17], s[28:29]
	s_xor_b64 s[16:17], exec, s[16:17]
	s_cbranch_execz .LBB12_1003
; %bb.989:                              ;   in Loop: Header=BB12_943 Depth=1
	s_and_saveexec_b64 s[18:19], s[6:7]
	s_cbranch_execz .LBB12_1002
; %bb.990:                              ;   in Loop: Header=BB12_943 Depth=1
	s_mov_b64 s[50:51], exec
	v_mbcnt_lo_u32_b32 v0, s50, 0
	v_mbcnt_hi_u32_b32 v0, s51, v0
	v_cmp_eq_u32_e32 vcc, 0, v0
	s_waitcnt lgkmcnt(0)
	s_and_saveexec_b64 s[48:49], vcc
	s_cbranch_execz .LBB12_992
; %bb.991:                              ;   in Loop: Header=BB12_943 Depth=1
	s_bcnt1_i32_b64 vcc_lo, s[50:51]
	v_mov_b32_e32 v0, vcc_lo
	ds_add_u64 v0, v[0:1]
	s_trap 2
.LBB12_992:                             ;   in Loop: Header=BB12_943 Depth=1
	s_or_b64 exec, exec, s[48:49]
	s_trap 2
	ds_read_b64 v[4:5], v0
	v_accvgpr_read_b32 v6, a36
	v_accvgpr_read_b32 v9, a1
	;; [unrolled: 1-line block ×4, first 2 shown]
	v_lshl_add_u64 v[6:7], v[6:7], 0, v[8:9]
	v_accvgpr_write_b32 a37, v7
	v_accvgpr_write_b32 a36, v6
	s_waitcnt lgkmcnt(0)
	v_cmp_lt_u64_e32 vcc, v[4:5], v[6:7]
	s_and_saveexec_b64 s[48:49], vcc
	s_cbranch_execz .LBB12_1001
; %bb.993:                              ;   in Loop: Header=BB12_943 Depth=1
	s_mov_b32 s60, 0
	s_mov_b64 s[50:51], 0
                                        ; implicit-def: $sgpr52_sgpr53
                                        ; implicit-def: $sgpr54_sgpr55
	s_branch .LBB12_995
.LBB12_994:                             ;   in Loop: Header=BB12_995 Depth=2
	s_or_b64 exec, exec, s[58:59]
	s_and_b64 vcc, exec, vcc
	s_or_b64 s[50:51], vcc, s[50:51]
	s_andn2_b64 vcc, s[52:53], exec
	s_and_b64 s[52:53], s[54:55], exec
	s_or_b64 s[52:53], vcc, s[52:53]
	s_andn2_b64 exec, exec, s[50:51]
	s_cbranch_execz .LBB12_999
.LBB12_995:                             ;   Parent Loop BB12_943 Depth=1
                                        ; =>  This Inner Loop Header: Depth=2
	s_add_i32 s60, s60, 1
	s_cmpk_lg_i32 s60, 0x2710
	s_cselect_b64 s[56:57], -1, 0
	s_and_b64 vcc, exec, s[56:57]
                                        ; implicit-def: $sgpr58_sgpr59
	s_cbranch_vccnz .LBB12_997
; %bb.996:                              ;   in Loop: Header=BB12_995 Depth=2
	s_trap 2
	ds_read_b64 v[4:5], v0
	s_andn2_b64 s[56:57], s[56:57], exec
	s_mov_b32 s60, 0
	s_mov_b64 s[58:59], -1
	s_waitcnt vmcnt(0) lgkmcnt(0)
	flat_load_dword v0, v[4:5] sc0 sc1
	s_waitcnt vmcnt(0) lgkmcnt(0)
	buffer_inv sc0 sc1
	v_cmp_eq_u32_e32 vcc, 0, v0
	s_and_b64 vcc, vcc, exec
	s_or_b64 s[56:57], s[56:57], vcc
.LBB12_997:                             ;   in Loop: Header=BB12_995 Depth=2
	s_andn2_b64 s[54:55], s[54:55], exec
	s_and_b64 s[58:59], s[58:59], exec
	s_mov_b64 vcc, -1
	s_or_b64 s[54:55], s[54:55], s[58:59]
	s_and_saveexec_b64 s[58:59], s[56:57]
	s_cbranch_execz .LBB12_994
; %bb.998:                              ;   in Loop: Header=BB12_995 Depth=2
	s_sleep 1
	s_trap 2
	ds_read_b64 v[4:5], v0
	v_accvgpr_read_b32 v6, a36
	v_accvgpr_read_b32 v7, a37
	s_andn2_b64 s[54:55], s[54:55], exec
	s_waitcnt lgkmcnt(0)
	v_cmp_ge_u64_e32 vcc, v[4:5], v[6:7]
	s_orn2_b64 vcc, vcc, exec
	s_branch .LBB12_994
.LBB12_999:                             ;   in Loop: Header=BB12_943 Depth=1
	s_or_b64 exec, exec, s[50:51]
	s_and_saveexec_b64 vcc, s[52:53]
	s_xor_b64 vcc, exec, vcc
	s_cbranch_execz .LBB12_1001
; %bb.1000:                             ;   in Loop: Header=BB12_943 Depth=1
	v_mov_b32_e32 v0, 1
	ds_write_b32 v0, v0
	s_trap 2
.LBB12_1001:                            ;   in Loop: Header=BB12_943 Depth=1
	s_or_b64 exec, exec, s[48:49]
	;;#ASMSTART
	s_wakeup
	;;#ASMEND
.LBB12_1002:                            ;   in Loop: Header=BB12_943 Depth=1
	s_or_b64 exec, exec, s[18:19]
.LBB12_1003:                            ;   in Loop: Header=BB12_943 Depth=1
	s_andn2_saveexec_b64 s[16:17], s[16:17]
	s_cbranch_execz .LBB12_1005
; %bb.1004:                             ;   in Loop: Header=BB12_943 Depth=1
	s_waitcnt lgkmcnt(0)
	s_barrier
.LBB12_1005:                            ;   in Loop: Header=BB12_943 Depth=1
	s_or_b64 exec, exec, s[16:17]
.LBB12_1006:                            ;   in Loop: Header=BB12_943 Depth=1
	s_or_b64 exec, exec, s[14:15]
	s_trap 2
	ds_read_b64 v[4:5], v0
	v_accvgpr_read_b32 v0, a56
	v_min_u32_e32 v40, v40, v0
	s_waitcnt lgkmcnt(0)
	v_readfirstlane_b32 s14, v4
	v_readfirstlane_b32 s15, v5
	s_cmp_eq_u64 s[14:15], 0
	s_cselect_b64 s[14:15], -1, 0
	s_or_b64 s[16:17], s[14:15], s[14:15]
	s_mov_b64 s[14:15], 0
	s_and_b64 vcc, exec, s[16:17]
	s_cbranch_vccnz .LBB12_1752
; %bb.1007:                             ;   in Loop: Header=BB12_943 Depth=1
	s_mov_b64 s[14:15], -1
	s_and_saveexec_b64 s[16:17], s[10:11]
	s_cbranch_execz .LBB12_1009
; %bb.1008:                             ;   in Loop: Header=BB12_943 Depth=1
	ds_read_b32 v0, v0 offset:720
	s_waitcnt lgkmcnt(0)
	v_and_b32_e32 v0, 15, v0
	v_cmp_eq_u32_e32 vcc, 0, v0
	s_orn2_b64 s[14:15], vcc, exec
.LBB12_1009:                            ;   in Loop: Header=BB12_943 Depth=1
	s_or_b64 exec, exec, s[16:17]
	s_and_saveexec_b64 s[16:17], s[12:13]
	s_cbranch_execz .LBB12_1011
; %bb.1010:                             ;   in Loop: Header=BB12_943 Depth=1
	ds_read_b32 v0, v0 offset:784
	s_waitcnt lgkmcnt(0)
	v_and_b32_e32 v0, 15, v0
	v_cmp_eq_u32_e32 vcc, 0, v0
	s_and_b64 s[18:19], s[14:15], vcc
	s_andn2_b64 s[14:15], s[14:15], exec
	s_and_b64 s[18:19], s[18:19], exec
	s_or_b64 s[14:15], s[14:15], s[18:19]
.LBB12_1011:                            ;   in Loop: Header=BB12_943 Depth=1
	s_or_b64 exec, exec, s[16:17]
	s_xor_b64 s[14:15], s[14:15], -1
	v_cndmask_b32_e64 v0, 0, 1, s[14:15]
	;;#ASMSTART
	;;#ASMEND
	s_trap 2
	ds_read_b64 v[4:5], v0
	v_cmp_eq_u32_e32 vcc, 0, v2
	v_mov_b32_e32 v6, 0
	s_mov_b64 s[14:15], -1
	v_cndmask_b32_e32 v30, 0, v40, vcc
	v_lshlrev_b32_e32 v47, 1, v30
	v_cmp_ne_u32_e32 vcc, 0, v0
	s_waitcnt lgkmcnt(0)
	scratch_store_dwordx2 off, v[4:5], s33 offset:296 ; 8-byte Folded Spill
	s_cbranch_vccz .LBB12_1013
; %bb.1012:                             ;   in Loop: Header=BB12_943 Depth=1
	v_mov_b32_e32 v4, v49
	v_mov_b32_e32 v2, v48
	s_and_saveexec_b64 s[18:19], s[14:15]
	s_cbranch_execnz .LBB12_1523
	s_branch .LBB12_1751
.LBB12_1013:                            ;   in Loop: Header=BB12_943 Depth=1
	scratch_store_dwordx2 off, v[56:57], s33 offset:332 ; 8-byte Folded Spill
	scratch_store_dword off, v30, s33 offset:324 ; 4-byte Folded Spill
	scratch_load_dwordx2 v[2:3], off, s33 offset:340 ; 8-byte Folded Reload
	v_lshrrev_b32_e32 v0, 11, v30
	v_sub_u32_e32 v52, v0, v48
	v_cmp_lt_i32_e32 vcc, 0, v52
	s_mov_b64 s[16:17], 0
	scratch_store_dword off, v0, s33 offset:328 ; 4-byte Folded Spill
                                        ; implicit-def: $vgpr56_vgpr57
                                        ; implicit-def: $agpr52_agpr53
                                        ; implicit-def: $vgpr36_vgpr37
                                        ; implicit-def: $agpr20_agpr21
                                        ; implicit-def: $vgpr26_vgpr27
                                        ; implicit-def: $agpr48_agpr49
                                        ; implicit-def: $vgpr14_vgpr15
                                        ; implicit-def: $agpr40_agpr41
	s_waitcnt vmcnt(0)
	v_lshl_add_u64 v[30:31], v[4:5], 0, v[2:3]
	s_and_saveexec_b64 s[14:15], vcc
	s_cbranch_execz .LBB12_1277
; %bb.1014:                             ;   in Loop: Header=BB12_943 Depth=1
	scratch_store_dword off, v47, s33 offset:400 ; 4-byte Folded Spill
	scratch_store_dword off, v40, s33 offset:412 ; 4-byte Folded Spill
	s_trap 2
	scratch_load_dwordx2 v[6:7], off, s33 offset:340 ; 8-byte Folded Reload
	ds_read_b128 v[2:5], v0
	s_mov_b64 s[48:49], 0
                                        ; implicit-def: $sgpr18_sgpr19
                                        ; implicit-def: $agpr42_agpr43
                                        ; implicit-def: $vgpr16_vgpr17
                                        ; implicit-def: $agpr50_agpr51
                                        ; implicit-def: $vgpr28_vgpr29
                                        ; implicit-def: $agpr22_agpr23
                                        ; implicit-def: $vgpr38_vgpr39
                                        ; implicit-def: $agpr54_agpr55
                                        ; implicit-def: $vgpr58_vgpr59
	s_waitcnt vmcnt(0) lgkmcnt(0)
	v_lshl_add_u64 v[24:25], v[2:3], 0, v[6:7]
	v_lshl_add_u64 v[22:23], v[4:5], 0, v[6:7]
	s_branch .LBB12_1016
.LBB12_1015:                            ;   in Loop: Header=BB12_1016 Depth=2
	s_or_b64 exec, exec, s[50:51]
	v_lshrrev_b32_e32 v2, 16, v40
	v_and_or_b32 v41, v41, s69, v2
	v_lshrrev_b32_e32 v2, 16, v7
	v_and_or_b32 v40, v35, s69, v2
	v_lshrrev_b32_e32 v2, 16, v44
	v_and_or_b32 v42, v42, s69, v2
	v_lshrrev_b32_e32 v2, 16, v45
	v_and_or_b32 v43, v43, s69, v2
	v_lshrrev_b32_e32 v2, 16, v21
	v_and_or_b32 v33, v10, s69, v2
	v_lshrrev_b32_e32 v2, 16, v18
	v_and_or_b32 v32, v19, s69, v2
	v_lshrrev_b32_e32 v2, 16, v11
	v_and_or_b32 v34, v8, s69, v2
	v_lshrrev_b32_e32 v2, 16, v9
	v_and_or_b32 v35, v6, s69, v2
	v_lshrrev_b32_e32 v2, 16, v62
	v_and_or_b32 v7, v60, s69, v2
	v_accvgpr_read_b32 v2, a3
	v_lshrrev_b32_e32 v2, 16, v2
	v_and_or_b32 v6, v0, s69, v2
	v_lshrrev_b32_e32 v0, 16, v61
	v_and_or_b32 v8, v12, s69, v0
	;; [unrolled: 2-line block ×7, first 2 shown]
	global_store_dwordx4 v[30:31], v[6:9], off nt
	global_store_dwordx4 v[30:31], v[32:35], off offset:1024 nt
	global_store_dwordx4 v[30:31], v[40:43], off offset:2048 nt
	;; [unrolled: 1-line block ×3, first 2 shown]
	scratch_load_dwordx2 v[4:5], off, s33 offset:264 ; 8-byte Folded Reload
	v_accvgpr_read_b32 v6, a8
	v_mov_b32_e32 v0, 0x1000
	v_cndmask_b32_e64 v6, v0, v6, s[48:49]
	v_accvgpr_read_b32 v7, a9
	v_cndmask_b32_e64 v7, 0, v7, s[48:49]
	v_lshl_add_u64 v[30:31], v[30:31], 0, v[6:7]
	s_waitcnt vmcnt(0)
	v_lshl_add_u64 v[2:3], v[24:25], 0, v[4:5]
	v_cndmask_b32_e64 v25, v25, v3, s[48:49]
	v_cndmask_b32_e64 v24, v24, v2, s[48:49]
	v_accvgpr_read_b32 v3, a1
	v_accvgpr_read_b32 v2, a0
	v_cndmask_b32_e64 v0, 0, v2, s[48:49]
	v_accvgpr_read_b32 v2, a2
	v_sub_u32_e32 v52, v2, v0
	v_cmp_gt_i32_e32 vcc, 1, v52
	s_or_b64 s[16:17], vcc, s[16:17]
	v_lshl_add_u64 v[4:5], v[22:23], 0, v[4:5]
	s_andn2_b64 s[18:19], s[18:19], exec
	s_and_b64 vcc, s[48:49], exec
	v_cndmask_b32_e64 v23, v23, v5, s[48:49]
	v_cndmask_b32_e64 v22, v22, v4, s[48:49]
	s_or_b64 s[18:19], s[18:19], vcc
	s_andn2_b64 exec, exec, s[16:17]
	s_cbranch_execz .LBB12_1276
.LBB12_1016:                            ;   Parent Loop BB12_943 Depth=1
                                        ; =>  This Inner Loop Header: Depth=2
	v_accvgpr_write_b32 a58, v52
	global_load_dwordx4 v[18:21], v[24:25], off nt
	global_load_dwordx4 v[6:9], v[24:25], off offset:1024 nt
	global_load_dwordx4 v[44:47], v[24:25], off offset:2048 nt
	;; [unrolled: 1-line block ×3, first 2 shown]
	global_load_dwordx4 v[10:13], v[22:23], off nt
	global_load_dwordx4 v[2:5], v[22:23], off offset:1024 nt
	global_load_dwordx4 v[40:43], v[22:23], off offset:2048 nt
	;; [unrolled: 1-line block ×3, first 2 shown]
	s_and_saveexec_b64 s[50:51], s[48:49]
	s_cbranch_execz .LBB12_1146
; %bb.1017:                             ;   in Loop: Header=BB12_1016 Depth=2
	v_accvgpr_read_b32 v32, a52
	v_lshlrev_b32_e32 v0, 16, v56
	v_accvgpr_read_b32 v33, a53
	v_lshlrev_b32_e32 v32, 16, v32
	v_pk_mul_f32 v[60:61], v[0:1], v[32:33] op_sel_hi:[0,1]
	v_and_b32_e32 v0, 0x7f800000, v60
	v_cmp_ne_u32_e32 vcc, s66, v0
	v_accvgpr_read_b32 v34, a54
	v_accvgpr_read_b32 v35, a55
                                        ; implicit-def: $agpr12
	s_and_saveexec_b64 s[48:49], vcc
	s_xor_b64 vcc, exec, s[48:49]
; %bb.1018:                             ;   in Loop: Header=BB12_1016 Depth=2
	v_bfe_u32 v0, v60, 16, 1
	v_add3_u32 v0, v60, v0, s67
	v_accvgpr_write_b32 a12, v0
                                        ; implicit-def: $vgpr60_vgpr61
; %bb.1019:                             ;   in Loop: Header=BB12_1016 Depth=2
	s_andn2_saveexec_b64 s[48:49], vcc
; %bb.1020:                             ;   in Loop: Header=BB12_1016 Depth=2
	v_or_b32_e32 v0, 0x10000, v60
	v_cmp_eq_u32_sdwa vcc, v60, v1 src0_sel:WORD_0 src1_sel:DWORD
	s_nop 1
	v_cndmask_b32_e32 v0, v0, v60, vcc
	v_accvgpr_write_b32 a12, v0
; %bb.1021:                             ;   in Loop: Header=BB12_1016 Depth=2
	s_or_b64 exec, exec, s[48:49]
	v_accvgpr_read_b32 v32, a52
	v_accvgpr_read_b32 v33, a53
	v_mov_b32_e32 v0, v32
	v_mov_b32_e32 v33, v56
	v_and_b32_e32 v32, 0xffff0000, v33
	v_and_b32_e32 v0, 0xffff0000, v0
	v_pk_mul_f32 v[60:61], v[32:33], v[0:1] op_sel_hi:[0,1]
	v_and_b32_e32 v0, 0x7f800000, v60
	v_cmp_ne_u32_e32 vcc, s66, v0
	v_accvgpr_read_b32 v34, a54
	v_accvgpr_read_b32 v35, a55
                                        ; implicit-def: $agpr13
	s_and_saveexec_b64 s[48:49], vcc
	s_xor_b64 vcc, exec, s[48:49]
; %bb.1022:                             ;   in Loop: Header=BB12_1016 Depth=2
	v_bfe_u32 v0, v60, 16, 1
	v_add3_u32 v0, v60, v0, s67
	v_accvgpr_write_b32 a13, v0
                                        ; implicit-def: $vgpr60_vgpr61
; %bb.1023:                             ;   in Loop: Header=BB12_1016 Depth=2
	s_andn2_saveexec_b64 s[48:49], vcc
; %bb.1024:                             ;   in Loop: Header=BB12_1016 Depth=2
	v_or_b32_e32 v0, 0x10000, v60
	v_cmp_eq_u32_sdwa vcc, v60, v1 src0_sel:WORD_0 src1_sel:DWORD
	s_nop 1
	v_cndmask_b32_e32 v0, v0, v60, vcc
	v_accvgpr_write_b32 a13, v0
; %bb.1025:                             ;   in Loop: Header=BB12_1016 Depth=2
	s_or_b64 exec, exec, s[48:49]
	v_accvgpr_read_b32 v32, a52
	v_accvgpr_read_b32 v33, a53
	v_lshlrev_b32_e32 v0, 16, v57
	v_lshlrev_b32_e32 v32, 16, v33
	v_pk_mul_f32 v[60:61], v[0:1], v[32:33] op_sel_hi:[0,1]
	v_and_b32_e32 v0, 0x7f800000, v60
	v_cmp_ne_u32_e32 vcc, s66, v0
	v_accvgpr_read_b32 v34, a54
	v_accvgpr_read_b32 v35, a55
                                        ; implicit-def: $agpr14
	s_and_saveexec_b64 s[48:49], vcc
	s_xor_b64 vcc, exec, s[48:49]
; %bb.1026:                             ;   in Loop: Header=BB12_1016 Depth=2
	v_bfe_u32 v0, v60, 16, 1
	v_add3_u32 v0, v60, v0, s67
	v_accvgpr_write_b32 a14, v0
                                        ; implicit-def: $vgpr60_vgpr61
; %bb.1027:                             ;   in Loop: Header=BB12_1016 Depth=2
	s_andn2_saveexec_b64 s[48:49], vcc
; %bb.1028:                             ;   in Loop: Header=BB12_1016 Depth=2
	v_or_b32_e32 v0, 0x10000, v60
	v_cmp_eq_u32_sdwa vcc, v60, v1 src0_sel:WORD_0 src1_sel:DWORD
	s_nop 1
	v_cndmask_b32_e32 v0, v0, v60, vcc
	v_accvgpr_write_b32 a14, v0
; %bb.1029:                             ;   in Loop: Header=BB12_1016 Depth=2
	s_or_b64 exec, exec, s[48:49]
	v_accvgpr_read_b32 v32, a52
	v_accvgpr_read_b32 v33, a53
	v_mov_b32_e32 v0, v33
	v_and_b32_e32 v32, 0xffff0000, v57
	v_and_b32_e32 v0, 0xffff0000, v0
	v_pk_mul_f32 v[56:57], v[32:33], v[0:1] op_sel_hi:[0,1]
	v_and_b32_e32 v0, 0x7f800000, v56
	v_cmp_ne_u32_e32 vcc, s66, v0
	v_accvgpr_read_b32 v34, a54
	v_accvgpr_read_b32 v35, a55
                                        ; implicit-def: $agpr18
	s_and_saveexec_b64 s[48:49], vcc
	s_xor_b64 vcc, exec, s[48:49]
; %bb.1030:                             ;   in Loop: Header=BB12_1016 Depth=2
	v_bfe_u32 v0, v56, 16, 1
	v_add3_u32 v0, v56, v0, s67
	v_accvgpr_write_b32 a18, v0
                                        ; implicit-def: $vgpr56_vgpr57
; %bb.1031:                             ;   in Loop: Header=BB12_1016 Depth=2
	s_andn2_saveexec_b64 s[48:49], vcc
; %bb.1032:                             ;   in Loop: Header=BB12_1016 Depth=2
	v_or_b32_e32 v0, 0x10000, v56
	v_cmp_eq_u32_sdwa vcc, v56, v1 src0_sel:WORD_0 src1_sel:DWORD
	s_nop 1
	v_cndmask_b32_e32 v0, v0, v56, vcc
	v_accvgpr_write_b32 a18, v0
; %bb.1033:                             ;   in Loop: Header=BB12_1016 Depth=2
	s_or_b64 exec, exec, s[48:49]
	v_accvgpr_read_b32 v32, a52
	v_accvgpr_read_b32 v34, a54
	v_lshlrev_b32_e32 v0, 16, v58
	v_accvgpr_read_b32 v33, a53
	v_lshlrev_b32_e32 v32, 16, v34
	v_pk_mul_f32 v[56:57], v[0:1], v[32:33] op_sel_hi:[0,1]
	v_and_b32_e32 v0, 0x7f800000, v56
	v_cmp_ne_u32_e32 vcc, s66, v0
	v_accvgpr_read_b32 v35, a55
                                        ; implicit-def: $agpr19
	s_and_saveexec_b64 s[48:49], vcc
	s_xor_b64 vcc, exec, s[48:49]
; %bb.1034:                             ;   in Loop: Header=BB12_1016 Depth=2
	v_bfe_u32 v0, v56, 16, 1
	v_add3_u32 v0, v56, v0, s67
	v_accvgpr_write_b32 a19, v0
                                        ; implicit-def: $vgpr56_vgpr57
; %bb.1035:                             ;   in Loop: Header=BB12_1016 Depth=2
	s_andn2_saveexec_b64 s[48:49], vcc
; %bb.1036:                             ;   in Loop: Header=BB12_1016 Depth=2
	v_or_b32_e32 v0, 0x10000, v56
	v_cmp_eq_u32_sdwa vcc, v56, v1 src0_sel:WORD_0 src1_sel:DWORD
	s_nop 1
	v_cndmask_b32_e32 v0, v0, v56, vcc
	v_accvgpr_write_b32 a19, v0
; %bb.1037:                             ;   in Loop: Header=BB12_1016 Depth=2
	s_or_b64 exec, exec, s[48:49]
	v_accvgpr_read_b32 v32, a52
	v_accvgpr_read_b32 v33, a53
	;; [unrolled: 1-line block ×3, first 2 shown]
	v_mov_b32_e32 v0, v34
	v_mov_b32_e32 v33, v58
	v_and_b32_e32 v32, 0xffff0000, v33
	v_and_b32_e32 v0, 0xffff0000, v0
	v_pk_mul_f32 v[56:57], v[32:33], v[0:1] op_sel_hi:[0,1]
	v_and_b32_e32 v0, 0x7f800000, v56
	v_cmp_ne_u32_e32 vcc, s66, v0
	v_accvgpr_read_b32 v35, a55
                                        ; implicit-def: $agpr30
	s_and_saveexec_b64 s[48:49], vcc
	s_xor_b64 vcc, exec, s[48:49]
; %bb.1038:                             ;   in Loop: Header=BB12_1016 Depth=2
	v_bfe_u32 v0, v56, 16, 1
	v_add3_u32 v0, v56, v0, s67
	v_accvgpr_write_b32 a30, v0
                                        ; implicit-def: $vgpr56_vgpr57
; %bb.1039:                             ;   in Loop: Header=BB12_1016 Depth=2
	s_andn2_saveexec_b64 s[48:49], vcc
; %bb.1040:                             ;   in Loop: Header=BB12_1016 Depth=2
	v_or_b32_e32 v0, 0x10000, v56
	v_cmp_eq_u32_sdwa vcc, v56, v1 src0_sel:WORD_0 src1_sel:DWORD
	s_nop 1
	v_cndmask_b32_e32 v0, v0, v56, vcc
	v_accvgpr_write_b32 a30, v0
; %bb.1041:                             ;   in Loop: Header=BB12_1016 Depth=2
	s_or_b64 exec, exec, s[48:49]
	v_accvgpr_read_b32 v32, a52
	v_accvgpr_read_b32 v35, a55
	v_lshlrev_b32_e32 v0, 16, v59
	v_accvgpr_read_b32 v33, a53
	v_lshlrev_b32_e32 v32, 16, v35
	v_pk_mul_f32 v[56:57], v[0:1], v[32:33] op_sel_hi:[0,1]
	v_and_b32_e32 v0, 0x7f800000, v56
	v_cmp_ne_u32_e32 vcc, s66, v0
	v_accvgpr_read_b32 v34, a54
                                        ; implicit-def: $agpr31
	s_and_saveexec_b64 s[48:49], vcc
	s_xor_b64 vcc, exec, s[48:49]
; %bb.1042:                             ;   in Loop: Header=BB12_1016 Depth=2
	v_bfe_u32 v0, v56, 16, 1
	v_add3_u32 v0, v56, v0, s67
	v_accvgpr_write_b32 a31, v0
                                        ; implicit-def: $vgpr56_vgpr57
; %bb.1043:                             ;   in Loop: Header=BB12_1016 Depth=2
	s_andn2_saveexec_b64 s[48:49], vcc
; %bb.1044:                             ;   in Loop: Header=BB12_1016 Depth=2
	v_or_b32_e32 v0, 0x10000, v56
	v_cmp_eq_u32_sdwa vcc, v56, v1 src0_sel:WORD_0 src1_sel:DWORD
	s_nop 1
	v_cndmask_b32_e32 v0, v0, v56, vcc
	v_accvgpr_write_b32 a31, v0
; %bb.1045:                             ;   in Loop: Header=BB12_1016 Depth=2
	s_or_b64 exec, exec, s[48:49]
	v_accvgpr_read_b32 v32, a52
	v_accvgpr_read_b32 v35, a55
	v_mov_b32_e32 v32, v35
	v_accvgpr_read_b32 v33, a53
	v_and_b32_e32 v0, 0xffff0000, v59
	v_and_b32_e32 v32, 0xffff0000, v32
	v_pk_mul_f32 v[56:57], v[0:1], v[32:33] op_sel_hi:[0,1]
	v_and_b32_e32 v0, 0x7f800000, v56
	v_cmp_ne_u32_e32 vcc, s66, v0
	v_accvgpr_read_b32 v34, a54
                                        ; implicit-def: $agpr62
	s_and_saveexec_b64 s[48:49], vcc
	s_xor_b64 vcc, exec, s[48:49]
; %bb.1046:                             ;   in Loop: Header=BB12_1016 Depth=2
	v_bfe_u32 v0, v56, 16, 1
	v_add3_u32 v0, v56, v0, s67
	v_accvgpr_write_b32 a62, v0
                                        ; implicit-def: $vgpr56_vgpr57
; %bb.1047:                             ;   in Loop: Header=BB12_1016 Depth=2
	s_andn2_saveexec_b64 s[48:49], vcc
; %bb.1048:                             ;   in Loop: Header=BB12_1016 Depth=2
	v_or_b32_e32 v0, 0x10000, v56
	v_cmp_eq_u32_sdwa vcc, v56, v1 src0_sel:WORD_0 src1_sel:DWORD
	s_nop 1
	v_cndmask_b32_e32 v0, v0, v56, vcc
	v_accvgpr_write_b32 a62, v0
; %bb.1049:                             ;   in Loop: Header=BB12_1016 Depth=2
	s_or_b64 exec, exec, s[48:49]
	v_accvgpr_read_b32 v35, a23
	v_accvgpr_read_b32 v32, a20
	v_lshlrev_b32_e32 v0, 16, v36
	v_accvgpr_read_b32 v33, a21
	v_lshlrev_b32_e32 v32, 16, v32
	v_pk_mul_f32 v[56:57], v[0:1], v[32:33] op_sel_hi:[0,1]
	v_and_b32_e32 v0, 0x7f800000, v56
	v_cmp_ne_u32_e32 vcc, s66, v0
	v_accvgpr_read_b32 v34, a22
                                        ; implicit-def: $agpr63
	s_and_saveexec_b64 s[48:49], vcc
	s_xor_b64 vcc, exec, s[48:49]
; %bb.1050:                             ;   in Loop: Header=BB12_1016 Depth=2
	v_bfe_u32 v0, v56, 16, 1
	v_add3_u32 v0, v56, v0, s67
	v_accvgpr_write_b32 a63, v0
                                        ; implicit-def: $vgpr56_vgpr57
; %bb.1051:                             ;   in Loop: Header=BB12_1016 Depth=2
	s_andn2_saveexec_b64 s[48:49], vcc
; %bb.1052:                             ;   in Loop: Header=BB12_1016 Depth=2
	v_or_b32_e32 v0, 0x10000, v56
	v_cmp_eq_u32_sdwa vcc, v56, v1 src0_sel:WORD_0 src1_sel:DWORD
	s_nop 1
	v_cndmask_b32_e32 v0, v0, v56, vcc
	v_accvgpr_write_b32 a63, v0
; %bb.1053:                             ;   in Loop: Header=BB12_1016 Depth=2
	s_or_b64 exec, exec, s[48:49]
	v_accvgpr_read_b32 v35, a23
	v_accvgpr_read_b32 v33, a21
	;; [unrolled: 1-line block ×3, first 2 shown]
	v_mov_b32_e32 v0, v32
	v_mov_b32_e32 v33, v36
	v_and_b32_e32 v32, 0xffff0000, v33
	v_and_b32_e32 v0, 0xffff0000, v0
	v_pk_mul_f32 v[56:57], v[32:33], v[0:1] op_sel_hi:[0,1]
	v_and_b32_e32 v0, 0x7f800000, v56
	v_cmp_ne_u32_e32 vcc, s66, v0
	v_accvgpr_read_b32 v34, a22
                                        ; implicit-def: $agpr57
	s_and_saveexec_b64 s[48:49], vcc
	s_xor_b64 vcc, exec, s[48:49]
; %bb.1054:                             ;   in Loop: Header=BB12_1016 Depth=2
	v_bfe_u32 v0, v56, 16, 1
	v_add3_u32 v0, v56, v0, s67
	v_accvgpr_write_b32 a57, v0
                                        ; implicit-def: $vgpr56_vgpr57
; %bb.1055:                             ;   in Loop: Header=BB12_1016 Depth=2
	s_andn2_saveexec_b64 s[48:49], vcc
; %bb.1056:                             ;   in Loop: Header=BB12_1016 Depth=2
	v_or_b32_e32 v0, 0x10000, v56
	v_cmp_eq_u32_sdwa vcc, v56, v1 src0_sel:WORD_0 src1_sel:DWORD
	s_nop 1
	v_cndmask_b32_e32 v0, v0, v56, vcc
	v_accvgpr_write_b32 a57, v0
; %bb.1057:                             ;   in Loop: Header=BB12_1016 Depth=2
	s_or_b64 exec, exec, s[48:49]
	v_accvgpr_read_b32 v35, a23
	v_accvgpr_read_b32 v33, a21
	;; [unrolled: 1-line block ×3, first 2 shown]
	v_lshlrev_b32_e32 v0, 16, v37
	v_lshlrev_b32_e32 v32, 16, v33
	v_pk_mul_f32 v[56:57], v[0:1], v[32:33] op_sel_hi:[0,1]
	v_and_b32_e32 v0, 0x7f800000, v56
	v_cmp_ne_u32_e32 vcc, s66, v0
	v_accvgpr_read_b32 v34, a22
                                        ; implicit-def: $agpr59
	s_and_saveexec_b64 s[48:49], vcc
	s_xor_b64 vcc, exec, s[48:49]
; %bb.1058:                             ;   in Loop: Header=BB12_1016 Depth=2
	v_bfe_u32 v0, v56, 16, 1
	v_add3_u32 v0, v56, v0, s67
	v_accvgpr_write_b32 a59, v0
                                        ; implicit-def: $vgpr56_vgpr57
; %bb.1059:                             ;   in Loop: Header=BB12_1016 Depth=2
	s_andn2_saveexec_b64 s[48:49], vcc
; %bb.1060:                             ;   in Loop: Header=BB12_1016 Depth=2
	v_or_b32_e32 v0, 0x10000, v56
	v_cmp_eq_u32_sdwa vcc, v56, v1 src0_sel:WORD_0 src1_sel:DWORD
	s_nop 1
	v_cndmask_b32_e32 v0, v0, v56, vcc
	v_accvgpr_write_b32 a59, v0
; %bb.1061:                             ;   in Loop: Header=BB12_1016 Depth=2
	s_or_b64 exec, exec, s[48:49]
	v_accvgpr_read_b32 v35, a23
	v_accvgpr_read_b32 v33, a21
	;; [unrolled: 1-line block ×3, first 2 shown]
	v_mov_b32_e32 v0, v33
	v_and_b32_e32 v32, 0xffff0000, v37
	v_and_b32_e32 v0, 0xffff0000, v0
	v_pk_mul_f32 v[36:37], v[32:33], v[0:1] op_sel_hi:[0,1]
	v_and_b32_e32 v0, 0x7f800000, v36
	v_cmp_ne_u32_e32 vcc, s66, v0
	v_accvgpr_read_b32 v34, a22
                                        ; implicit-def: $agpr10
	s_and_saveexec_b64 s[48:49], vcc
	s_xor_b64 vcc, exec, s[48:49]
; %bb.1062:                             ;   in Loop: Header=BB12_1016 Depth=2
	v_bfe_u32 v0, v36, 16, 1
	v_add3_u32 v0, v36, v0, s67
	v_accvgpr_write_b32 a10, v0
                                        ; implicit-def: $vgpr36_vgpr37
; %bb.1063:                             ;   in Loop: Header=BB12_1016 Depth=2
	s_andn2_saveexec_b64 s[48:49], vcc
; %bb.1064:                             ;   in Loop: Header=BB12_1016 Depth=2
	v_or_b32_e32 v0, 0x10000, v36
	v_cmp_eq_u32_sdwa vcc, v36, v1 src0_sel:WORD_0 src1_sel:DWORD
	s_nop 1
	v_cndmask_b32_e32 v0, v0, v36, vcc
	v_accvgpr_write_b32 a10, v0
; %bb.1065:                             ;   in Loop: Header=BB12_1016 Depth=2
	s_or_b64 exec, exec, s[48:49]
	v_accvgpr_read_b32 v35, a23
	v_accvgpr_read_b32 v34, a22
	;; [unrolled: 1-line block ×3, first 2 shown]
	v_lshlrev_b32_e32 v0, 16, v38
	v_accvgpr_read_b32 v33, a21
	v_lshlrev_b32_e32 v32, 16, v34
	v_pk_mul_f32 v[36:37], v[0:1], v[32:33] op_sel_hi:[0,1]
	v_and_b32_e32 v0, 0x7f800000, v36
	v_cmp_ne_u32_e32 vcc, s66, v0
                                        ; implicit-def: $agpr11
	s_and_saveexec_b64 s[48:49], vcc
	s_xor_b64 vcc, exec, s[48:49]
; %bb.1066:                             ;   in Loop: Header=BB12_1016 Depth=2
	v_bfe_u32 v0, v36, 16, 1
	v_add3_u32 v0, v36, v0, s67
	v_accvgpr_write_b32 a11, v0
                                        ; implicit-def: $vgpr36_vgpr37
; %bb.1067:                             ;   in Loop: Header=BB12_1016 Depth=2
	s_andn2_saveexec_b64 s[48:49], vcc
; %bb.1068:                             ;   in Loop: Header=BB12_1016 Depth=2
	v_or_b32_e32 v0, 0x10000, v36
	v_cmp_eq_u32_sdwa vcc, v36, v1 src0_sel:WORD_0 src1_sel:DWORD
	s_nop 1
	v_cndmask_b32_e32 v0, v0, v36, vcc
	v_accvgpr_write_b32 a11, v0
; %bb.1069:                             ;   in Loop: Header=BB12_1016 Depth=2
	s_or_b64 exec, exec, s[48:49]
	v_accvgpr_read_b32 v35, a23
	v_accvgpr_read_b32 v34, a22
	v_accvgpr_read_b32 v33, a21
	v_accvgpr_read_b32 v32, a20
	v_mov_b32_e32 v0, v34
	v_mov_b32_e32 v33, v38
	v_and_b32_e32 v32, 0xffff0000, v33
	v_and_b32_e32 v0, 0xffff0000, v0
	v_pk_mul_f32 v[36:37], v[32:33], v[0:1] op_sel_hi:[0,1]
	v_and_b32_e32 v0, 0x7f800000, v36
	v_cmp_ne_u32_e32 vcc, s66, v0
                                        ; implicit-def: $agpr60
	s_and_saveexec_b64 s[48:49], vcc
	s_xor_b64 vcc, exec, s[48:49]
; %bb.1070:                             ;   in Loop: Header=BB12_1016 Depth=2
	v_bfe_u32 v0, v36, 16, 1
	v_add3_u32 v0, v36, v0, s67
	v_accvgpr_write_b32 a60, v0
                                        ; implicit-def: $vgpr36_vgpr37
; %bb.1071:                             ;   in Loop: Header=BB12_1016 Depth=2
	s_andn2_saveexec_b64 s[48:49], vcc
; %bb.1072:                             ;   in Loop: Header=BB12_1016 Depth=2
	v_or_b32_e32 v0, 0x10000, v36
	v_cmp_eq_u32_sdwa vcc, v36, v1 src0_sel:WORD_0 src1_sel:DWORD
	s_nop 1
	v_cndmask_b32_e32 v0, v0, v36, vcc
	v_accvgpr_write_b32 a60, v0
; %bb.1073:                             ;   in Loop: Header=BB12_1016 Depth=2
	s_or_b64 exec, exec, s[48:49]
	v_accvgpr_read_b32 v35, a23
	v_accvgpr_read_b32 v32, a20
	v_lshlrev_b32_e32 v0, 16, v39
	v_accvgpr_read_b32 v33, a21
	v_lshlrev_b32_e32 v32, 16, v35
	v_pk_mul_f32 v[36:37], v[0:1], v[32:33] op_sel_hi:[0,1]
	v_and_b32_e32 v0, 0x7f800000, v36
	v_cmp_ne_u32_e32 vcc, s66, v0
	v_accvgpr_read_b32 v34, a22
                                        ; implicit-def: $agpr61
	s_and_saveexec_b64 s[48:49], vcc
	s_xor_b64 vcc, exec, s[48:49]
; %bb.1074:                             ;   in Loop: Header=BB12_1016 Depth=2
	v_bfe_u32 v0, v36, 16, 1
	v_add3_u32 v0, v36, v0, s67
	v_accvgpr_write_b32 a61, v0
                                        ; implicit-def: $vgpr36_vgpr37
; %bb.1075:                             ;   in Loop: Header=BB12_1016 Depth=2
	s_andn2_saveexec_b64 s[48:49], vcc
; %bb.1076:                             ;   in Loop: Header=BB12_1016 Depth=2
	v_or_b32_e32 v0, 0x10000, v36
	v_cmp_eq_u32_sdwa vcc, v36, v1 src0_sel:WORD_0 src1_sel:DWORD
	s_nop 1
	v_cndmask_b32_e32 v0, v0, v36, vcc
	v_accvgpr_write_b32 a61, v0
; %bb.1077:                             ;   in Loop: Header=BB12_1016 Depth=2
	s_or_b64 exec, exec, s[48:49]
	v_accvgpr_read_b32 v35, a23
	v_accvgpr_read_b32 v32, a20
	v_mov_b32_e32 v32, v35
	v_accvgpr_read_b32 v33, a21
	v_and_b32_e32 v0, 0xffff0000, v39
	v_and_b32_e32 v32, 0xffff0000, v32
	v_pk_mul_f32 v[36:37], v[0:1], v[32:33] op_sel_hi:[0,1]
	v_and_b32_e32 v0, 0x7f800000, v36
	v_cmp_ne_u32_e32 vcc, s66, v0
	v_accvgpr_read_b32 v34, a22
                                        ; implicit-def: $agpr6
	s_and_saveexec_b64 s[48:49], vcc
	s_xor_b64 vcc, exec, s[48:49]
; %bb.1078:                             ;   in Loop: Header=BB12_1016 Depth=2
	v_bfe_u32 v0, v36, 16, 1
	v_add3_u32 v0, v36, v0, s67
	v_accvgpr_write_b32 a6, v0
                                        ; implicit-def: $vgpr36_vgpr37
; %bb.1079:                             ;   in Loop: Header=BB12_1016 Depth=2
	s_andn2_saveexec_b64 s[48:49], vcc
; %bb.1080:                             ;   in Loop: Header=BB12_1016 Depth=2
	v_or_b32_e32 v0, 0x10000, v36
	v_cmp_eq_u32_sdwa vcc, v36, v1 src0_sel:WORD_0 src1_sel:DWORD
	s_nop 1
	v_cndmask_b32_e32 v0, v0, v36, vcc
	v_accvgpr_write_b32 a6, v0
; %bb.1081:                             ;   in Loop: Header=BB12_1016 Depth=2
	s_or_b64 exec, exec, s[48:49]
	v_accvgpr_read_b32 v32, a48
	v_lshlrev_b32_e32 v0, 16, v26
	v_accvgpr_read_b32 v33, a49
	v_lshlrev_b32_e32 v32, 16, v32
	v_pk_mul_f32 v[36:37], v[0:1], v[32:33] op_sel_hi:[0,1]
	v_and_b32_e32 v0, 0x7f800000, v36
	v_cmp_ne_u32_e32 vcc, s66, v0
	v_accvgpr_read_b32 v34, a50
	v_accvgpr_read_b32 v35, a51
                                        ; implicit-def: $vgpr38
	s_and_saveexec_b64 s[48:49], vcc
	s_xor_b64 vcc, exec, s[48:49]
; %bb.1082:                             ;   in Loop: Header=BB12_1016 Depth=2
	v_bfe_u32 v0, v36, 16, 1
	v_add3_u32 v38, v36, v0, s67
                                        ; implicit-def: $vgpr36_vgpr37
; %bb.1083:                             ;   in Loop: Header=BB12_1016 Depth=2
	s_andn2_saveexec_b64 s[48:49], vcc
; %bb.1084:                             ;   in Loop: Header=BB12_1016 Depth=2
	v_or_b32_e32 v0, 0x10000, v36
	v_cmp_eq_u32_sdwa vcc, v36, v1 src0_sel:WORD_0 src1_sel:DWORD
	s_nop 1
	v_cndmask_b32_e32 v38, v0, v36, vcc
; %bb.1085:                             ;   in Loop: Header=BB12_1016 Depth=2
	s_or_b64 exec, exec, s[48:49]
	v_accvgpr_read_b32 v32, a48
	v_accvgpr_read_b32 v33, a49
	v_mov_b32_e32 v0, v32
	v_mov_b32_e32 v33, v26
	v_and_b32_e32 v26, 0xffff0000, v33
	v_and_b32_e32 v0, 0xffff0000, v0
	v_pk_mul_f32 v[36:37], v[26:27], v[0:1] op_sel_hi:[0,1]
	v_and_b32_e32 v0, 0x7f800000, v36
	v_cmp_ne_u32_e32 vcc, s66, v0
	v_accvgpr_read_b32 v34, a50
	v_accvgpr_read_b32 v35, a51
                                        ; implicit-def: $vgpr39
	s_and_saveexec_b64 s[48:49], vcc
	s_xor_b64 vcc, exec, s[48:49]
; %bb.1086:                             ;   in Loop: Header=BB12_1016 Depth=2
	v_bfe_u32 v0, v36, 16, 1
	v_add3_u32 v39, v36, v0, s67
                                        ; implicit-def: $vgpr36_vgpr37
; %bb.1087:                             ;   in Loop: Header=BB12_1016 Depth=2
	s_andn2_saveexec_b64 s[48:49], vcc
; %bb.1088:                             ;   in Loop: Header=BB12_1016 Depth=2
	v_or_b32_e32 v0, 0x10000, v36
	v_cmp_eq_u32_sdwa vcc, v36, v1 src0_sel:WORD_0 src1_sel:DWORD
	s_nop 1
	v_cndmask_b32_e32 v39, v0, v36, vcc
; %bb.1089:                             ;   in Loop: Header=BB12_1016 Depth=2
	s_or_b64 exec, exec, s[48:49]
	v_accvgpr_read_b32 v32, a48
	v_accvgpr_read_b32 v33, a49
	v_lshlrev_b32_e32 v0, 16, v27
	v_lshlrev_b32_e32 v26, 16, v33
	v_pk_mul_f32 v[36:37], v[0:1], v[26:27] op_sel_hi:[0,1]
	v_and_b32_e32 v0, 0x7f800000, v36
	v_accvgpr_read_b32 v34, a50
	v_cmp_ne_u32_e32 vcc, s66, v0
	v_accvgpr_read_b32 v35, a51
                                        ; implicit-def: $vgpr34
	s_and_saveexec_b64 s[48:49], vcc
	s_xor_b64 vcc, exec, s[48:49]
; %bb.1090:                             ;   in Loop: Header=BB12_1016 Depth=2
	v_bfe_u32 v0, v36, 16, 1
	v_add3_u32 v34, v36, v0, s67
                                        ; implicit-def: $vgpr36_vgpr37
; %bb.1091:                             ;   in Loop: Header=BB12_1016 Depth=2
	s_andn2_saveexec_b64 s[48:49], vcc
; %bb.1092:                             ;   in Loop: Header=BB12_1016 Depth=2
	v_or_b32_e32 v0, 0x10000, v36
	v_cmp_eq_u32_sdwa vcc, v36, v1 src0_sel:WORD_0 src1_sel:DWORD
	s_nop 1
	v_cndmask_b32_e32 v34, v0, v36, vcc
; %bb.1093:                             ;   in Loop: Header=BB12_1016 Depth=2
	s_or_b64 exec, exec, s[48:49]
	v_accvgpr_mov_b32 a2, a48
	v_accvgpr_mov_b32 a3, a49
	v_accvgpr_read_b32 v0, a3
	v_and_b32_e32 v26, 0xffff0000, v27
	v_and_b32_e32 v0, 0xffff0000, v0
	v_pk_mul_f32 v[26:27], v[26:27], v[0:1] op_sel_hi:[0,1]
	v_and_b32_e32 v0, 0x7f800000, v26
	v_cmp_ne_u32_e32 vcc, s66, v0
	v_accvgpr_mov_b32 a4, a50
	v_accvgpr_mov_b32 a5, a51
                                        ; implicit-def: $vgpr36
	s_and_saveexec_b64 s[48:49], vcc
	s_xor_b64 vcc, exec, s[48:49]
; %bb.1094:                             ;   in Loop: Header=BB12_1016 Depth=2
	v_bfe_u32 v0, v26, 16, 1
	v_add3_u32 v36, v26, v0, s67
                                        ; implicit-def: $vgpr26_vgpr27
; %bb.1095:                             ;   in Loop: Header=BB12_1016 Depth=2
	s_andn2_saveexec_b64 s[48:49], vcc
; %bb.1096:                             ;   in Loop: Header=BB12_1016 Depth=2
	v_or_b32_e32 v0, 0x10000, v26
	v_cmp_eq_u32_sdwa vcc, v26, v1 src0_sel:WORD_0 src1_sel:DWORD
	s_nop 1
	v_cndmask_b32_e32 v36, v0, v26, vcc
; %bb.1097:                             ;   in Loop: Header=BB12_1016 Depth=2
	s_or_b64 exec, exec, s[48:49]
	v_accvgpr_read_b32 v59, a51
	v_accvgpr_read_b32 v58, a50
	v_lshlrev_b32_e32 v0, 16, v28
	v_lshlrev_b32_e32 v26, 16, v58
	v_pk_mul_f32 v[26:27], v[0:1], v[26:27] op_sel_hi:[0,1]
	v_and_b32_e32 v0, 0x7f800000, v26
	v_cmp_ne_u32_e32 vcc, s66, v0
	v_accvgpr_read_b32 v57, a49
	v_accvgpr_read_b32 v56, a48
                                        ; implicit-def: $vgpr37
	s_and_saveexec_b64 s[48:49], vcc
	s_xor_b64 vcc, exec, s[48:49]
; %bb.1098:                             ;   in Loop: Header=BB12_1016 Depth=2
	v_bfe_u32 v0, v26, 16, 1
	v_add3_u32 v37, v26, v0, s67
                                        ; implicit-def: $vgpr26_vgpr27
; %bb.1099:                             ;   in Loop: Header=BB12_1016 Depth=2
	s_andn2_saveexec_b64 s[48:49], vcc
; %bb.1100:                             ;   in Loop: Header=BB12_1016 Depth=2
	v_or_b32_e32 v0, 0x10000, v26
	v_cmp_eq_u32_sdwa vcc, v26, v1 src0_sel:WORD_0 src1_sel:DWORD
	s_nop 1
	v_cndmask_b32_e32 v37, v0, v26, vcc
; %bb.1101:                             ;   in Loop: Header=BB12_1016 Depth=2
	s_or_b64 exec, exec, s[48:49]
	v_accvgpr_mov_b32 a2, a48
	v_accvgpr_mov_b32 a4, a50
	v_accvgpr_read_b32 v0, a4
	v_mov_b32_e32 v27, v28
	v_and_b32_e32 v26, 0xffff0000, v27
	v_and_b32_e32 v0, 0xffff0000, v0
	v_pk_mul_f32 v[26:27], v[26:27], v[0:1] op_sel_hi:[0,1]
	v_and_b32_e32 v0, 0x7f800000, v26
	v_cmp_ne_u32_e32 vcc, s66, v0
	v_accvgpr_mov_b32 a3, a49
	v_accvgpr_mov_b32 a5, a51
                                        ; implicit-def: $vgpr28
	s_and_saveexec_b64 s[48:49], vcc
	s_xor_b64 vcc, exec, s[48:49]
; %bb.1102:                             ;   in Loop: Header=BB12_1016 Depth=2
	v_bfe_u32 v0, v26, 16, 1
	v_add3_u32 v28, v26, v0, s67
                                        ; implicit-def: $vgpr26_vgpr27
; %bb.1103:                             ;   in Loop: Header=BB12_1016 Depth=2
	s_andn2_saveexec_b64 s[48:49], vcc
; %bb.1104:                             ;   in Loop: Header=BB12_1016 Depth=2
	v_or_b32_e32 v0, 0x10000, v26
	v_cmp_eq_u32_sdwa vcc, v26, v1 src0_sel:WORD_0 src1_sel:DWORD
	s_nop 1
	v_cndmask_b32_e32 v28, v0, v26, vcc
; %bb.1105:                             ;   in Loop: Header=BB12_1016 Depth=2
	s_or_b64 exec, exec, s[48:49]
	v_accvgpr_read_b32 v59, a51
	v_lshlrev_b32_e32 v0, 16, v29
	v_lshlrev_b32_e32 v26, 16, v59
	v_pk_mul_f32 v[26:27], v[0:1], v[26:27] op_sel_hi:[0,1]
	v_and_b32_e32 v0, 0x7f800000, v26
	v_cmp_ne_u32_e32 vcc, s66, v0
	v_accvgpr_read_b32 v58, a50
	v_accvgpr_read_b32 v57, a49
	;; [unrolled: 1-line block ×3, first 2 shown]
                                        ; implicit-def: $vgpr35
	s_and_saveexec_b64 s[48:49], vcc
	s_xor_b64 vcc, exec, s[48:49]
; %bb.1106:                             ;   in Loop: Header=BB12_1016 Depth=2
	v_bfe_u32 v0, v26, 16, 1
	v_add3_u32 v35, v26, v0, s67
                                        ; implicit-def: $vgpr26_vgpr27
; %bb.1107:                             ;   in Loop: Header=BB12_1016 Depth=2
	s_andn2_saveexec_b64 s[48:49], vcc
; %bb.1108:                             ;   in Loop: Header=BB12_1016 Depth=2
	v_or_b32_e32 v0, 0x10000, v26
	v_cmp_eq_u32_sdwa vcc, v26, v1 src0_sel:WORD_0 src1_sel:DWORD
	s_nop 1
	v_cndmask_b32_e32 v35, v0, v26, vcc
; %bb.1109:                             ;   in Loop: Header=BB12_1016 Depth=2
	s_or_b64 exec, exec, s[48:49]
	v_accvgpr_mov_b32 a2, a48
	v_accvgpr_mov_b32 a5, a51
	v_accvgpr_read_b32 v26, a5
	v_and_b32_e32 v0, 0xffff0000, v29
	v_and_b32_e32 v26, 0xffff0000, v26
	v_pk_mul_f32 v[26:27], v[0:1], v[26:27] op_sel_hi:[0,1]
	v_and_b32_e32 v0, 0x7f800000, v26
	v_cmp_ne_u32_e32 vcc, s66, v0
	v_accvgpr_mov_b32 a3, a49
	v_accvgpr_mov_b32 a4, a50
                                        ; implicit-def: $vgpr29
	s_and_saveexec_b64 s[48:49], vcc
	s_xor_b64 vcc, exec, s[48:49]
; %bb.1110:                             ;   in Loop: Header=BB12_1016 Depth=2
	v_bfe_u32 v0, v26, 16, 1
	v_add3_u32 v29, v26, v0, s67
                                        ; implicit-def: $vgpr26_vgpr27
; %bb.1111:                             ;   in Loop: Header=BB12_1016 Depth=2
	s_andn2_saveexec_b64 s[48:49], vcc
; %bb.1112:                             ;   in Loop: Header=BB12_1016 Depth=2
	v_or_b32_e32 v0, 0x10000, v26
	v_cmp_eq_u32_sdwa vcc, v26, v1 src0_sel:WORD_0 src1_sel:DWORD
	s_nop 1
	v_cndmask_b32_e32 v29, v0, v26, vcc
; %bb.1113:                             ;   in Loop: Header=BB12_1016 Depth=2
	s_or_b64 exec, exec, s[48:49]
	v_accvgpr_read_b32 v61, a43
	v_accvgpr_read_b32 v58, a40
	v_lshlrev_b32_e32 v0, 16, v14
	v_lshlrev_b32_e32 v26, 16, v58
	v_pk_mul_f32 v[26:27], v[0:1], v[26:27] op_sel_hi:[0,1]
	v_and_b32_e32 v0, 0x7f800000, v26
	v_accvgpr_read_b32 v60, a42
	v_cmp_ne_u32_e32 vcc, s66, v0
	v_accvgpr_read_b32 v59, a41
                                        ; implicit-def: $vgpr60
	s_and_saveexec_b64 s[48:49], vcc
	s_xor_b64 vcc, exec, s[48:49]
; %bb.1114:                             ;   in Loop: Header=BB12_1016 Depth=2
	v_bfe_u32 v0, v26, 16, 1
	v_add3_u32 v60, v26, v0, s67
                                        ; implicit-def: $vgpr26_vgpr27
; %bb.1115:                             ;   in Loop: Header=BB12_1016 Depth=2
	s_andn2_saveexec_b64 s[48:49], vcc
; %bb.1116:                             ;   in Loop: Header=BB12_1016 Depth=2
	v_or_b32_e32 v0, 0x10000, v26
	v_cmp_eq_u32_sdwa vcc, v26, v1 src0_sel:WORD_0 src1_sel:DWORD
	s_nop 1
	v_cndmask_b32_e32 v60, v0, v26, vcc
; %bb.1117:                             ;   in Loop: Header=BB12_1016 Depth=2
	s_or_b64 exec, exec, s[48:49]
	v_accvgpr_mov_b32 a2, a40
	v_accvgpr_read_b32 v0, a2
	v_mov_b32_e32 v27, v14
	v_and_b32_e32 v14, 0xffff0000, v27
	v_and_b32_e32 v0, 0xffff0000, v0
	v_pk_mul_f32 v[26:27], v[14:15], v[0:1] op_sel_hi:[0,1]
	v_and_b32_e32 v0, 0x7f800000, v26
	v_cmp_ne_u32_e32 vcc, s66, v0
	v_accvgpr_mov_b32 a3, a41
	v_accvgpr_mov_b32 a4, a42
	;; [unrolled: 1-line block ×3, first 2 shown]
                                        ; implicit-def: $vgpr61
	s_and_saveexec_b64 s[48:49], vcc
	s_xor_b64 vcc, exec, s[48:49]
; %bb.1118:                             ;   in Loop: Header=BB12_1016 Depth=2
	v_bfe_u32 v0, v26, 16, 1
	v_add3_u32 v61, v26, v0, s67
                                        ; implicit-def: $vgpr26_vgpr27
; %bb.1119:                             ;   in Loop: Header=BB12_1016 Depth=2
	s_andn2_saveexec_b64 s[48:49], vcc
; %bb.1120:                             ;   in Loop: Header=BB12_1016 Depth=2
	v_or_b32_e32 v0, 0x10000, v26
	v_cmp_eq_u32_sdwa vcc, v26, v1 src0_sel:WORD_0 src1_sel:DWORD
	s_nop 1
	v_cndmask_b32_e32 v61, v0, v26, vcc
; %bb.1121:                             ;   in Loop: Header=BB12_1016 Depth=2
	s_or_b64 exec, exec, s[48:49]
	v_accvgpr_read_b32 v59, a43
	v_accvgpr_read_b32 v57, a41
	v_lshlrev_b32_e32 v0, 16, v15
	v_lshlrev_b32_e32 v14, 16, v57
	v_pk_mul_f32 v[26:27], v[0:1], v[14:15] op_sel_hi:[0,1]
	v_and_b32_e32 v0, 0x7f800000, v26
	v_cmp_ne_u32_e32 vcc, s66, v0
	v_accvgpr_read_b32 v58, a42
	v_accvgpr_read_b32 v56, a40
                                        ; implicit-def: $vgpr62
	s_and_saveexec_b64 s[48:49], vcc
	s_xor_b64 vcc, exec, s[48:49]
; %bb.1122:                             ;   in Loop: Header=BB12_1016 Depth=2
	v_bfe_u32 v0, v26, 16, 1
	v_add3_u32 v62, v26, v0, s67
                                        ; implicit-def: $vgpr26_vgpr27
; %bb.1123:                             ;   in Loop: Header=BB12_1016 Depth=2
	s_andn2_saveexec_b64 s[48:49], vcc
; %bb.1124:                             ;   in Loop: Header=BB12_1016 Depth=2
	v_or_b32_e32 v0, 0x10000, v26
	v_cmp_eq_u32_sdwa vcc, v26, v1 src0_sel:WORD_0 src1_sel:DWORD
	s_nop 1
	v_cndmask_b32_e32 v62, v0, v26, vcc
; %bb.1125:                             ;   in Loop: Header=BB12_1016 Depth=2
	s_or_b64 exec, exec, s[48:49]
	v_accvgpr_mov_b32 a2, a40
	v_accvgpr_mov_b32 a3, a41
	v_accvgpr_read_b32 v0, a3
	v_and_b32_e32 v14, 0xffff0000, v15
	v_and_b32_e32 v0, 0xffff0000, v0
	v_pk_mul_f32 v[14:15], v[14:15], v[0:1] op_sel_hi:[0,1]
	v_and_b32_e32 v0, 0x7f800000, v14
	v_cmp_ne_u32_e32 vcc, s66, v0
	v_accvgpr_mov_b32 a4, a42
	v_accvgpr_mov_b32 a5, a43
                                        ; implicit-def: $vgpr32
	s_and_saveexec_b64 s[48:49], vcc
	s_xor_b64 vcc, exec, s[48:49]
; %bb.1126:                             ;   in Loop: Header=BB12_1016 Depth=2
	v_bfe_u32 v0, v14, 16, 1
	v_add3_u32 v32, v14, v0, s67
                                        ; implicit-def: $vgpr14_vgpr15
; %bb.1127:                             ;   in Loop: Header=BB12_1016 Depth=2
	s_andn2_saveexec_b64 s[48:49], vcc
; %bb.1128:                             ;   in Loop: Header=BB12_1016 Depth=2
	v_or_b32_e32 v0, 0x10000, v14
	v_cmp_eq_u32_sdwa vcc, v14, v1 src0_sel:WORD_0 src1_sel:DWORD
	s_nop 1
	v_cndmask_b32_e32 v32, v0, v14, vcc
; %bb.1129:                             ;   in Loop: Header=BB12_1016 Depth=2
	s_or_b64 exec, exec, s[48:49]
	v_accvgpr_read_b32 v59, a43
	v_accvgpr_read_b32 v58, a42
	v_lshlrev_b32_e32 v0, 16, v16
	v_lshlrev_b32_e32 v14, 16, v58
	v_pk_mul_f32 v[14:15], v[0:1], v[14:15] op_sel_hi:[0,1]
	v_and_b32_e32 v0, 0x7f800000, v14
	v_cmp_ne_u32_e32 vcc, s66, v0
	v_accvgpr_read_b32 v57, a41
	v_accvgpr_read_b32 v56, a40
                                        ; implicit-def: $vgpr33
	s_and_saveexec_b64 s[48:49], vcc
	s_xor_b64 vcc, exec, s[48:49]
; %bb.1130:                             ;   in Loop: Header=BB12_1016 Depth=2
	v_bfe_u32 v0, v14, 16, 1
	v_add3_u32 v33, v14, v0, s67
                                        ; implicit-def: $vgpr14_vgpr15
; %bb.1131:                             ;   in Loop: Header=BB12_1016 Depth=2
	s_andn2_saveexec_b64 s[48:49], vcc
; %bb.1132:                             ;   in Loop: Header=BB12_1016 Depth=2
	v_or_b32_e32 v0, 0x10000, v14
	v_cmp_eq_u32_sdwa vcc, v14, v1 src0_sel:WORD_0 src1_sel:DWORD
	s_nop 1
	v_cndmask_b32_e32 v33, v0, v14, vcc
; %bb.1133:                             ;   in Loop: Header=BB12_1016 Depth=2
	s_or_b64 exec, exec, s[48:49]
	v_accvgpr_mov_b32 a2, a40
	v_accvgpr_mov_b32 a4, a42
	v_accvgpr_read_b32 v0, a4
	v_mov_b32_e32 v15, v16
	v_and_b32_e32 v14, 0xffff0000, v15
	v_and_b32_e32 v0, 0xffff0000, v0
	v_pk_mul_f32 v[14:15], v[14:15], v[0:1] op_sel_hi:[0,1]
	v_and_b32_e32 v0, 0x7f800000, v14
	v_cmp_ne_u32_e32 vcc, s66, v0
	v_accvgpr_mov_b32 a3, a41
	v_accvgpr_mov_b32 a5, a43
                                        ; implicit-def: $vgpr16
	s_and_saveexec_b64 s[48:49], vcc
	s_xor_b64 vcc, exec, s[48:49]
; %bb.1134:                             ;   in Loop: Header=BB12_1016 Depth=2
	v_bfe_u32 v0, v14, 16, 1
	v_add3_u32 v16, v14, v0, s67
                                        ; implicit-def: $vgpr14_vgpr15
; %bb.1135:                             ;   in Loop: Header=BB12_1016 Depth=2
	s_andn2_saveexec_b64 s[48:49], vcc
; %bb.1136:                             ;   in Loop: Header=BB12_1016 Depth=2
	v_or_b32_e32 v0, 0x10000, v14
	v_cmp_eq_u32_sdwa vcc, v14, v1 src0_sel:WORD_0 src1_sel:DWORD
	s_nop 1
	v_cndmask_b32_e32 v16, v0, v14, vcc
; %bb.1137:                             ;   in Loop: Header=BB12_1016 Depth=2
	s_or_b64 exec, exec, s[48:49]
	v_accvgpr_read_b32 v59, a43
	v_lshlrev_b32_e32 v0, 16, v17
	v_lshlrev_b32_e32 v14, 16, v59
	v_pk_mul_f32 v[14:15], v[0:1], v[14:15] op_sel_hi:[0,1]
	v_and_b32_e32 v0, 0x7f800000, v14
	v_cmp_ne_u32_e32 vcc, s66, v0
	v_accvgpr_read_b32 v58, a42
	v_accvgpr_read_b32 v57, a41
	;; [unrolled: 1-line block ×3, first 2 shown]
                                        ; implicit-def: $vgpr0
	s_and_saveexec_b64 s[48:49], vcc
	s_xor_b64 vcc, exec, s[48:49]
; %bb.1138:                             ;   in Loop: Header=BB12_1016 Depth=2
	v_bfe_u32 v0, v14, 16, 1
	v_add3_u32 v0, v14, v0, s67
                                        ; implicit-def: $vgpr14_vgpr15
; %bb.1139:                             ;   in Loop: Header=BB12_1016 Depth=2
	s_andn2_saveexec_b64 s[48:49], vcc
; %bb.1140:                             ;   in Loop: Header=BB12_1016 Depth=2
	v_or_b32_e32 v0, 0x10000, v14
	v_cmp_eq_u32_sdwa vcc, v14, v1 src0_sel:WORD_0 src1_sel:DWORD
	s_nop 1
	v_cndmask_b32_e32 v0, v0, v14, vcc
; %bb.1141:                             ;   in Loop: Header=BB12_1016 Depth=2
	s_or_b64 exec, exec, s[48:49]
	v_accvgpr_mov_b32 a2, a40
	v_accvgpr_mov_b32 a5, a43
	v_accvgpr_read_b32 v14, a5
	v_and_b32_e32 v26, 0xffff0000, v17
	v_and_b32_e32 v14, 0xffff0000, v14
	v_pk_mul_f32 v[14:15], v[26:27], v[14:15] op_sel_hi:[0,1]
	v_and_b32_e32 v15, 0x7f800000, v14
	v_cmp_ne_u32_e32 vcc, s66, v15
	v_accvgpr_mov_b32 a3, a41
	v_accvgpr_mov_b32 a4, a42
                                        ; implicit-def: $vgpr17
	s_and_saveexec_b64 s[48:49], vcc
	s_xor_b64 vcc, exec, s[48:49]
; %bb.1142:                             ;   in Loop: Header=BB12_1016 Depth=2
	v_bfe_u32 v15, v14, 16, 1
	v_add3_u32 v17, v14, v15, s67
                                        ; implicit-def: $vgpr14_vgpr15
; %bb.1143:                             ;   in Loop: Header=BB12_1016 Depth=2
	s_andn2_saveexec_b64 s[48:49], vcc
; %bb.1144:                             ;   in Loop: Header=BB12_1016 Depth=2
	v_or_b32_e32 v15, 0x10000, v14
	v_cmp_eq_u32_sdwa vcc, v14, v1 src0_sel:WORD_0 src1_sel:DWORD
	s_nop 1
	v_cndmask_b32_e32 v17, v15, v14, vcc
; %bb.1145:                             ;   in Loop: Header=BB12_1016 Depth=2
	s_or_b64 exec, exec, s[48:49]
	v_lshrrev_b32_e32 v14, 16, v34
	v_and_or_b32 v27, v36, s69, v14
	v_lshrrev_b32_e32 v14, 16, v38
	v_and_or_b32 v26, v39, s69, v14
	;; [unrolled: 2-line block ×4, first 2 shown]
	v_accvgpr_read_b32 v14, a59
	v_lshrrev_b32_e32 v14, 16, v14
	v_accvgpr_read_b32 v15, a10
	v_and_or_b32 v37, v15, s69, v14
	v_accvgpr_read_b32 v14, a63
	v_lshrrev_b32_e32 v14, 16, v14
	v_accvgpr_read_b32 v15, a57
	v_and_or_b32 v36, v15, s69, v14
	;; [unrolled: 4-line block ×8, first 2 shown]
	v_lshrrev_b32_e32 v14, 16, v62
	v_and_or_b32 v15, v32, s69, v14
	v_lshrrev_b32_e32 v32, 16, v33
	v_and_or_b32 v16, v16, s69, v32
	v_accvgpr_read_b32 v33, a9
	v_lshrrev_b32_e32 v14, 16, v60
	v_lshrrev_b32_e32 v0, 16, v0
	v_accvgpr_read_b32 v32, a8
	v_and_or_b32 v14, v61, s69, v14
	v_and_or_b32 v17, v17, s69, v0
	global_store_dwordx4 v[30:31], v[56:59], off nt
	global_store_dwordx4 v[30:31], v[36:39], off offset:1024 nt
	global_store_dwordx4 v[30:31], v[26:29], off offset:2048 nt
	;; [unrolled: 1-line block ×3, first 2 shown]
	v_lshl_add_u64 v[30:31], v[30:31], 0, v[32:33]
.LBB12_1146:                            ;   in Loop: Header=BB12_1016 Depth=2
	s_or_b64 exec, exec, s[50:51]
	v_accvgpr_read_b32 v33, a9
	v_accvgpr_read_b32 v32, a8
	v_lshl_add_u64 v[24:25], v[24:25], 0, v[32:33]
	v_lshl_add_u64 v[22:23], v[22:23], 0, v[32:33]
	v_accvgpr_read_b32 v33, a1
	v_accvgpr_read_b32 v32, a0
	;; [unrolled: 1-line block ×3, first 2 shown]
	v_sub_u32_e32 v0, v0, v32
	v_accvgpr_write_b32 a2, v0
	v_cmp_lt_i32_e64 s[48:49], 0, v0
	s_and_saveexec_b64 vcc, s[48:49]
	s_cbranch_execz .LBB12_1148
; %bb.1147:                             ;   in Loop: Header=BB12_1016 Depth=2
	global_load_dwordx4 v[56:59], v[24:25], off nt
	global_load_dwordx4 v[36:39], v[24:25], off offset:1024 nt
	global_load_dwordx4 v[26:29], v[24:25], off offset:2048 nt
	;; [unrolled: 1-line block ×3, first 2 shown]
	global_load_dwordx4 a[52:55], v[22:23], off nt
	global_load_dwordx4 a[20:23], v[22:23], off offset:1024 nt
	global_load_dwordx4 a[48:51], v[22:23], off offset:2048 nt
	;; [unrolled: 1-line block ×3, first 2 shown]
	v_lshl_add_u64 v[24:25], v[24:25], 0, s[30:31]
	v_lshl_add_u64 v[22:23], v[22:23], 0, s[30:31]
.LBB12_1148:                            ;   in Loop: Header=BB12_1016 Depth=2
	s_or_b64 exec, exec, vcc
	s_waitcnt vmcnt(3)
	v_lshlrev_b32_e32 v0, 16, v10
	v_lshlrev_b32_e32 v32, 16, v18
	v_pk_mul_f32 v[60:61], v[0:1], v[32:33] op_sel_hi:[0,1]
	v_and_b32_e32 v0, 0x7f800000, v60
	v_cmp_ne_u32_e32 vcc, s66, v0
                                        ; implicit-def: $agpr3
	s_and_saveexec_b64 s[50:51], vcc
	s_xor_b64 vcc, exec, s[50:51]
; %bb.1149:                             ;   in Loop: Header=BB12_1016 Depth=2
	v_bfe_u32 v0, v60, 16, 1
	v_add3_u32 v0, v60, v0, s67
	v_accvgpr_write_b32 a3, v0
                                        ; implicit-def: $vgpr60_vgpr61
; %bb.1150:                             ;   in Loop: Header=BB12_1016 Depth=2
	s_andn2_saveexec_b64 s[50:51], vcc
; %bb.1151:                             ;   in Loop: Header=BB12_1016 Depth=2
	v_or_b32_e32 v0, 0x10000, v60
	v_cmp_eq_u32_sdwa vcc, v60, v1 src0_sel:WORD_0 src1_sel:DWORD
	s_nop 1
	v_cndmask_b32_e32 v0, v0, v60, vcc
	v_accvgpr_write_b32 a3, v0
; %bb.1152:                             ;   in Loop: Header=BB12_1016 Depth=2
	s_or_b64 exec, exec, s[50:51]
	v_and_b32_e32 v0, 0xffff0000, v10
	v_and_b32_e32 v10, 0xffff0000, v18
	v_pk_mul_f32 v[60:61], v[0:1], v[10:11] op_sel_hi:[0,1]
	v_and_b32_e32 v0, 0x7f800000, v60
	v_cmp_ne_u32_e32 vcc, s66, v0
                                        ; implicit-def: $vgpr0
	s_and_saveexec_b64 s[50:51], vcc
	s_xor_b64 vcc, exec, s[50:51]
; %bb.1153:                             ;   in Loop: Header=BB12_1016 Depth=2
	v_bfe_u32 v0, v60, 16, 1
	v_add3_u32 v0, v60, v0, s67
                                        ; implicit-def: $vgpr60_vgpr61
; %bb.1154:                             ;   in Loop: Header=BB12_1016 Depth=2
	s_andn2_saveexec_b64 s[50:51], vcc
; %bb.1155:                             ;   in Loop: Header=BB12_1016 Depth=2
	v_or_b32_e32 v0, 0x10000, v60
	v_cmp_eq_u32_sdwa vcc, v60, v1 src0_sel:WORD_0 src1_sel:DWORD
	s_nop 1
	v_cndmask_b32_e32 v0, v0, v60, vcc
; %bb.1156:                             ;   in Loop: Header=BB12_1016 Depth=2
	s_or_b64 exec, exec, s[50:51]
	v_lshlrev_b32_e32 v10, 16, v11
	v_lshlrev_b32_e32 v18, 16, v19
	v_pk_mul_f32 v[60:61], v[10:11], v[18:19] op_sel_hi:[0,1]
	v_and_b32_e32 v10, 0x7f800000, v60
	v_cmp_ne_u32_e32 vcc, s66, v10
                                        ; implicit-def: $vgpr62
	s_and_saveexec_b64 s[50:51], vcc
	s_xor_b64 vcc, exec, s[50:51]
; %bb.1157:                             ;   in Loop: Header=BB12_1016 Depth=2
	v_bfe_u32 v10, v60, 16, 1
	v_add3_u32 v62, v60, v10, s67
                                        ; implicit-def: $vgpr60_vgpr61
; %bb.1158:                             ;   in Loop: Header=BB12_1016 Depth=2
	s_andn2_saveexec_b64 s[50:51], vcc
; %bb.1159:                             ;   in Loop: Header=BB12_1016 Depth=2
	v_or_b32_e32 v10, 0x10000, v60
	v_cmp_eq_u32_sdwa vcc, v60, v1 src0_sel:WORD_0 src1_sel:DWORD
	s_nop 1
	v_cndmask_b32_e32 v62, v10, v60, vcc
; %bb.1160:                             ;   in Loop: Header=BB12_1016 Depth=2
	s_or_b64 exec, exec, s[50:51]
	v_and_b32_e32 v10, 0xffff0000, v11
	v_and_b32_e32 v18, 0xffff0000, v19
	v_pk_mul_f32 v[10:11], v[10:11], v[18:19] op_sel_hi:[0,1]
	v_and_b32_e32 v11, 0x7f800000, v10
	v_cmp_ne_u32_e32 vcc, s66, v11
                                        ; implicit-def: $vgpr60
	s_and_saveexec_b64 s[50:51], vcc
	s_xor_b64 vcc, exec, s[50:51]
; %bb.1161:                             ;   in Loop: Header=BB12_1016 Depth=2
	v_bfe_u32 v11, v10, 16, 1
	v_add3_u32 v60, v10, v11, s67
                                        ; implicit-def: $vgpr10_vgpr11
; %bb.1162:                             ;   in Loop: Header=BB12_1016 Depth=2
	s_andn2_saveexec_b64 s[50:51], vcc
; %bb.1163:                             ;   in Loop: Header=BB12_1016 Depth=2
	v_or_b32_e32 v11, 0x10000, v10
	v_cmp_eq_u32_sdwa vcc, v10, v1 src0_sel:WORD_0 src1_sel:DWORD
	s_nop 1
	v_cndmask_b32_e32 v60, v11, v10, vcc
; %bb.1164:                             ;   in Loop: Header=BB12_1016 Depth=2
	s_or_b64 exec, exec, s[50:51]
	v_lshlrev_b32_e32 v10, 16, v12
	v_lshlrev_b32_e32 v18, 16, v20
	v_pk_mul_f32 v[10:11], v[10:11], v[18:19] op_sel_hi:[0,1]
	v_and_b32_e32 v11, 0x7f800000, v10
	v_cmp_ne_u32_e32 vcc, s66, v11
                                        ; implicit-def: $vgpr61
	s_and_saveexec_b64 s[50:51], vcc
	s_xor_b64 vcc, exec, s[50:51]
; %bb.1165:                             ;   in Loop: Header=BB12_1016 Depth=2
	v_bfe_u32 v11, v10, 16, 1
	v_add3_u32 v61, v10, v11, s67
                                        ; implicit-def: $vgpr10_vgpr11
; %bb.1166:                             ;   in Loop: Header=BB12_1016 Depth=2
	s_andn2_saveexec_b64 s[50:51], vcc
; %bb.1167:                             ;   in Loop: Header=BB12_1016 Depth=2
	v_or_b32_e32 v11, 0x10000, v10
	v_cmp_eq_u32_sdwa vcc, v10, v1 src0_sel:WORD_0 src1_sel:DWORD
	s_nop 1
	v_cndmask_b32_e32 v61, v11, v10, vcc
; %bb.1168:                             ;   in Loop: Header=BB12_1016 Depth=2
	s_or_b64 exec, exec, s[50:51]
	v_and_b32_e32 v10, 0xffff0000, v12
	v_and_b32_e32 v12, 0xffff0000, v20
	v_pk_mul_f32 v[10:11], v[10:11], v[12:13] op_sel_hi:[0,1]
	v_and_b32_e32 v11, 0x7f800000, v10
	v_cmp_ne_u32_e32 vcc, s66, v11
                                        ; implicit-def: $vgpr12
	s_and_saveexec_b64 s[50:51], vcc
	s_xor_b64 vcc, exec, s[50:51]
; %bb.1169:                             ;   in Loop: Header=BB12_1016 Depth=2
	v_bfe_u32 v11, v10, 16, 1
	v_add3_u32 v12, v10, v11, s67
                                        ; implicit-def: $vgpr10_vgpr11
; %bb.1170:                             ;   in Loop: Header=BB12_1016 Depth=2
	s_andn2_saveexec_b64 s[50:51], vcc
; %bb.1171:                             ;   in Loop: Header=BB12_1016 Depth=2
	v_or_b32_e32 v11, 0x10000, v10
	v_cmp_eq_u32_sdwa vcc, v10, v1 src0_sel:WORD_0 src1_sel:DWORD
	s_nop 1
	v_cndmask_b32_e32 v12, v11, v10, vcc
; %bb.1172:                             ;   in Loop: Header=BB12_1016 Depth=2
	s_or_b64 exec, exec, s[50:51]
	v_mov_b32_e32 v11, v21
	v_lshlrev_b32_e32 v10, 16, v13
	v_lshlrev_b32_e32 v18, 16, v11
	v_pk_mul_f32 v[18:19], v[10:11], v[18:19] op_sel_hi:[0,1]
	v_and_b32_e32 v10, 0x7f800000, v18
	v_cmp_ne_u32_e32 vcc, s66, v10
                                        ; implicit-def: $vgpr20
	s_and_saveexec_b64 s[50:51], vcc
	s_xor_b64 vcc, exec, s[50:51]
; %bb.1173:                             ;   in Loop: Header=BB12_1016 Depth=2
	v_bfe_u32 v10, v18, 16, 1
	v_add3_u32 v20, v18, v10, s67
                                        ; implicit-def: $vgpr18_vgpr19
; %bb.1174:                             ;   in Loop: Header=BB12_1016 Depth=2
	s_andn2_saveexec_b64 s[50:51], vcc
; %bb.1175:                             ;   in Loop: Header=BB12_1016 Depth=2
	v_or_b32_e32 v10, 0x10000, v18
	v_cmp_eq_u32_sdwa vcc, v18, v1 src0_sel:WORD_0 src1_sel:DWORD
	s_nop 1
	v_cndmask_b32_e32 v20, v10, v18, vcc
; %bb.1176:                             ;   in Loop: Header=BB12_1016 Depth=2
	s_or_b64 exec, exec, s[50:51]
	v_and_b32_e32 v10, 0xffff0000, v13
	v_and_b32_e32 v18, 0xffff0000, v11
	v_pk_mul_f32 v[10:11], v[10:11], v[18:19] op_sel_hi:[0,1]
	v_and_b32_e32 v11, 0x7f800000, v10
	v_cmp_ne_u32_e32 vcc, s66, v11
                                        ; implicit-def: $vgpr13
	s_and_saveexec_b64 s[50:51], vcc
	s_xor_b64 vcc, exec, s[50:51]
; %bb.1177:                             ;   in Loop: Header=BB12_1016 Depth=2
	v_bfe_u32 v11, v10, 16, 1
	v_add3_u32 v13, v10, v11, s67
                                        ; implicit-def: $vgpr10_vgpr11
; %bb.1178:                             ;   in Loop: Header=BB12_1016 Depth=2
	s_andn2_saveexec_b64 s[50:51], vcc
; %bb.1179:                             ;   in Loop: Header=BB12_1016 Depth=2
	v_or_b32_e32 v11, 0x10000, v10
	v_cmp_eq_u32_sdwa vcc, v10, v1 src0_sel:WORD_0 src1_sel:DWORD
	s_nop 1
	v_cndmask_b32_e32 v13, v11, v10, vcc
; %bb.1180:                             ;   in Loop: Header=BB12_1016 Depth=2
	s_or_b64 exec, exec, s[50:51]
	s_waitcnt vmcnt(2)
	v_lshlrev_b32_e32 v10, 16, v2
	v_lshlrev_b32_e32 v18, 16, v6
	v_pk_mul_f32 v[10:11], v[10:11], v[18:19] op_sel_hi:[0,1]
	v_and_b32_e32 v11, 0x7f800000, v10
	v_cmp_ne_u32_e32 vcc, s66, v11
                                        ; implicit-def: $vgpr18
	s_and_saveexec_b64 s[50:51], vcc
	s_xor_b64 vcc, exec, s[50:51]
; %bb.1181:                             ;   in Loop: Header=BB12_1016 Depth=2
	v_bfe_u32 v11, v10, 16, 1
	v_add3_u32 v18, v10, v11, s67
                                        ; implicit-def: $vgpr10_vgpr11
; %bb.1182:                             ;   in Loop: Header=BB12_1016 Depth=2
	s_andn2_saveexec_b64 s[50:51], vcc
; %bb.1183:                             ;   in Loop: Header=BB12_1016 Depth=2
	v_or_b32_e32 v11, 0x10000, v10
	v_cmp_eq_u32_sdwa vcc, v10, v1 src0_sel:WORD_0 src1_sel:DWORD
	s_nop 1
	v_cndmask_b32_e32 v18, v11, v10, vcc
; %bb.1184:                             ;   in Loop: Header=BB12_1016 Depth=2
	s_or_b64 exec, exec, s[50:51]
	v_and_b32_e32 v2, 0xffff0000, v2
	v_and_b32_e32 v6, 0xffff0000, v6
	v_pk_mul_f32 v[10:11], v[2:3], v[6:7] op_sel_hi:[0,1]
	v_and_b32_e32 v2, 0x7f800000, v10
	v_cmp_ne_u32_e32 vcc, s66, v2
                                        ; implicit-def: $vgpr19
	s_and_saveexec_b64 s[50:51], vcc
	s_xor_b64 vcc, exec, s[50:51]
; %bb.1185:                             ;   in Loop: Header=BB12_1016 Depth=2
	v_bfe_u32 v2, v10, 16, 1
	v_add3_u32 v19, v10, v2, s67
                                        ; implicit-def: $vgpr10_vgpr11
; %bb.1186:                             ;   in Loop: Header=BB12_1016 Depth=2
	s_andn2_saveexec_b64 s[50:51], vcc
; %bb.1187:                             ;   in Loop: Header=BB12_1016 Depth=2
	v_or_b32_e32 v2, 0x10000, v10
	v_cmp_eq_u32_sdwa vcc, v10, v1 src0_sel:WORD_0 src1_sel:DWORD
	s_nop 1
	v_cndmask_b32_e32 v19, v2, v10, vcc
; %bb.1188:                             ;   in Loop: Header=BB12_1016 Depth=2
	s_or_b64 exec, exec, s[50:51]
	v_lshlrev_b32_e32 v2, 16, v3
	v_lshlrev_b32_e32 v6, 16, v7
	v_pk_mul_f32 v[10:11], v[2:3], v[6:7] op_sel_hi:[0,1]
	v_and_b32_e32 v2, 0x7f800000, v10
	v_cmp_ne_u32_e32 vcc, s66, v2
                                        ; implicit-def: $vgpr21
	s_and_saveexec_b64 s[50:51], vcc
	s_xor_b64 vcc, exec, s[50:51]
; %bb.1189:                             ;   in Loop: Header=BB12_1016 Depth=2
	v_bfe_u32 v2, v10, 16, 1
	v_add3_u32 v21, v10, v2, s67
                                        ; implicit-def: $vgpr10_vgpr11
; %bb.1190:                             ;   in Loop: Header=BB12_1016 Depth=2
	s_andn2_saveexec_b64 s[50:51], vcc
; %bb.1191:                             ;   in Loop: Header=BB12_1016 Depth=2
	v_or_b32_e32 v2, 0x10000, v10
	v_cmp_eq_u32_sdwa vcc, v10, v1 src0_sel:WORD_0 src1_sel:DWORD
	s_nop 1
	v_cndmask_b32_e32 v21, v2, v10, vcc
; %bb.1192:                             ;   in Loop: Header=BB12_1016 Depth=2
	s_or_b64 exec, exec, s[50:51]
	v_and_b32_e32 v2, 0xffff0000, v3
	v_and_b32_e32 v6, 0xffff0000, v7
	v_pk_mul_f32 v[2:3], v[2:3], v[6:7] op_sel_hi:[0,1]
	v_and_b32_e32 v3, 0x7f800000, v2
	v_cmp_ne_u32_e32 vcc, s66, v3
                                        ; implicit-def: $vgpr10
	s_and_saveexec_b64 s[50:51], vcc
	s_xor_b64 vcc, exec, s[50:51]
; %bb.1193:                             ;   in Loop: Header=BB12_1016 Depth=2
	v_bfe_u32 v3, v2, 16, 1
	v_add3_u32 v10, v2, v3, s67
                                        ; implicit-def: $vgpr2_vgpr3
; %bb.1194:                             ;   in Loop: Header=BB12_1016 Depth=2
	s_andn2_saveexec_b64 s[50:51], vcc
; %bb.1195:                             ;   in Loop: Header=BB12_1016 Depth=2
	v_or_b32_e32 v3, 0x10000, v2
	v_cmp_eq_u32_sdwa vcc, v2, v1 src0_sel:WORD_0 src1_sel:DWORD
	s_nop 1
	v_cndmask_b32_e32 v10, v3, v2, vcc
; %bb.1196:                             ;   in Loop: Header=BB12_1016 Depth=2
	s_or_b64 exec, exec, s[50:51]
	v_lshlrev_b32_e32 v2, 16, v4
	v_lshlrev_b32_e32 v6, 16, v8
	v_pk_mul_f32 v[2:3], v[2:3], v[6:7] op_sel_hi:[0,1]
	v_and_b32_e32 v3, 0x7f800000, v2
	v_cmp_ne_u32_e32 vcc, s66, v3
                                        ; implicit-def: $vgpr11
	s_and_saveexec_b64 s[50:51], vcc
	s_xor_b64 vcc, exec, s[50:51]
; %bb.1197:                             ;   in Loop: Header=BB12_1016 Depth=2
	v_bfe_u32 v3, v2, 16, 1
	v_add3_u32 v11, v2, v3, s67
                                        ; implicit-def: $vgpr2_vgpr3
; %bb.1198:                             ;   in Loop: Header=BB12_1016 Depth=2
	s_andn2_saveexec_b64 s[50:51], vcc
; %bb.1199:                             ;   in Loop: Header=BB12_1016 Depth=2
	v_or_b32_e32 v3, 0x10000, v2
	v_cmp_eq_u32_sdwa vcc, v2, v1 src0_sel:WORD_0 src1_sel:DWORD
	s_nop 1
	v_cndmask_b32_e32 v11, v3, v2, vcc
; %bb.1200:                             ;   in Loop: Header=BB12_1016 Depth=2
	s_or_b64 exec, exec, s[50:51]
	v_and_b32_e32 v2, 0xffff0000, v4
	v_and_b32_e32 v4, 0xffff0000, v8
	v_pk_mul_f32 v[2:3], v[2:3], v[4:5] op_sel_hi:[0,1]
	v_and_b32_e32 v3, 0x7f800000, v2
	v_cmp_ne_u32_e32 vcc, s66, v3
                                        ; implicit-def: $vgpr8
	s_and_saveexec_b64 s[50:51], vcc
	s_xor_b64 vcc, exec, s[50:51]
; %bb.1201:                             ;   in Loop: Header=BB12_1016 Depth=2
	v_bfe_u32 v3, v2, 16, 1
	v_add3_u32 v8, v2, v3, s67
                                        ; implicit-def: $vgpr2_vgpr3
; %bb.1202:                             ;   in Loop: Header=BB12_1016 Depth=2
	s_andn2_saveexec_b64 s[50:51], vcc
; %bb.1203:                             ;   in Loop: Header=BB12_1016 Depth=2
	v_or_b32_e32 v3, 0x10000, v2
	v_cmp_eq_u32_sdwa vcc, v2, v1 src0_sel:WORD_0 src1_sel:DWORD
	s_nop 1
	v_cndmask_b32_e32 v8, v3, v2, vcc
; %bb.1204:                             ;   in Loop: Header=BB12_1016 Depth=2
	s_or_b64 exec, exec, s[50:51]
	v_mov_b32_e32 v3, v9
	v_lshlrev_b32_e32 v2, 16, v5
	v_lshlrev_b32_e32 v4, 16, v3
	v_pk_mul_f32 v[6:7], v[2:3], v[4:5] op_sel_hi:[0,1]
	v_and_b32_e32 v2, 0x7f800000, v6
	v_cmp_ne_u32_e32 vcc, s66, v2
                                        ; implicit-def: $vgpr9
	s_and_saveexec_b64 s[50:51], vcc
	s_xor_b64 vcc, exec, s[50:51]
; %bb.1205:                             ;   in Loop: Header=BB12_1016 Depth=2
	v_bfe_u32 v2, v6, 16, 1
	v_add3_u32 v9, v6, v2, s67
                                        ; implicit-def: $vgpr6_vgpr7
; %bb.1206:                             ;   in Loop: Header=BB12_1016 Depth=2
	s_andn2_saveexec_b64 s[50:51], vcc
; %bb.1207:                             ;   in Loop: Header=BB12_1016 Depth=2
	v_or_b32_e32 v2, 0x10000, v6
	v_cmp_eq_u32_sdwa vcc, v6, v1 src0_sel:WORD_0 src1_sel:DWORD
	s_nop 1
	v_cndmask_b32_e32 v9, v2, v6, vcc
; %bb.1208:                             ;   in Loop: Header=BB12_1016 Depth=2
	s_or_b64 exec, exec, s[50:51]
	v_and_b32_e32 v2, 0xffff0000, v5
	v_and_b32_e32 v4, 0xffff0000, v3
	v_pk_mul_f32 v[2:3], v[2:3], v[4:5] op_sel_hi:[0,1]
	v_and_b32_e32 v3, 0x7f800000, v2
	v_cmp_ne_u32_e32 vcc, s66, v3
                                        ; implicit-def: $vgpr6
	s_and_saveexec_b64 s[50:51], vcc
	s_xor_b64 vcc, exec, s[50:51]
; %bb.1209:                             ;   in Loop: Header=BB12_1016 Depth=2
	v_bfe_u32 v3, v2, 16, 1
	v_add3_u32 v6, v2, v3, s67
                                        ; implicit-def: $vgpr2_vgpr3
; %bb.1210:                             ;   in Loop: Header=BB12_1016 Depth=2
	s_andn2_saveexec_b64 s[50:51], vcc
; %bb.1211:                             ;   in Loop: Header=BB12_1016 Depth=2
	v_or_b32_e32 v3, 0x10000, v2
	v_cmp_eq_u32_sdwa vcc, v2, v1 src0_sel:WORD_0 src1_sel:DWORD
	s_nop 1
	v_cndmask_b32_e32 v6, v3, v2, vcc
; %bb.1212:                             ;   in Loop: Header=BB12_1016 Depth=2
	s_or_b64 exec, exec, s[50:51]
	s_waitcnt vmcnt(1)
	v_lshlrev_b32_e32 v2, 16, v40
	v_lshlrev_b32_e32 v4, 16, v44
	v_pk_mul_f32 v[2:3], v[2:3], v[4:5] op_sel_hi:[0,1]
	v_and_b32_e32 v3, 0x7f800000, v2
	v_cmp_ne_u32_e32 vcc, s66, v3
                                        ; implicit-def: $vgpr7
	s_and_saveexec_b64 s[50:51], vcc
	s_xor_b64 vcc, exec, s[50:51]
; %bb.1213:                             ;   in Loop: Header=BB12_1016 Depth=2
	v_bfe_u32 v3, v2, 16, 1
	v_add3_u32 v7, v2, v3, s67
                                        ; implicit-def: $vgpr2_vgpr3
; %bb.1214:                             ;   in Loop: Header=BB12_1016 Depth=2
	s_andn2_saveexec_b64 s[50:51], vcc
; %bb.1215:                             ;   in Loop: Header=BB12_1016 Depth=2
	v_or_b32_e32 v3, 0x10000, v2
	v_cmp_eq_u32_sdwa vcc, v2, v1 src0_sel:WORD_0 src1_sel:DWORD
	s_nop 1
	v_cndmask_b32_e32 v7, v3, v2, vcc
; %bb.1216:                             ;   in Loop: Header=BB12_1016 Depth=2
	s_or_b64 exec, exec, s[50:51]
	v_and_b32_e32 v2, 0xffff0000, v40
	v_and_b32_e32 v4, 0xffff0000, v44
	v_pk_mul_f32 v[2:3], v[2:3], v[4:5] op_sel_hi:[0,1]
	v_and_b32_e32 v3, 0x7f800000, v2
	v_cmp_ne_u32_e32 vcc, s66, v3
                                        ; implicit-def: $vgpr35
	s_and_saveexec_b64 s[50:51], vcc
	s_xor_b64 vcc, exec, s[50:51]
; %bb.1217:                             ;   in Loop: Header=BB12_1016 Depth=2
	v_bfe_u32 v3, v2, 16, 1
	v_add3_u32 v35, v2, v3, s67
                                        ; implicit-def: $vgpr2_vgpr3
; %bb.1218:                             ;   in Loop: Header=BB12_1016 Depth=2
	s_andn2_saveexec_b64 s[50:51], vcc
; %bb.1219:                             ;   in Loop: Header=BB12_1016 Depth=2
	v_or_b32_e32 v3, 0x10000, v2
	v_cmp_eq_u32_sdwa vcc, v2, v1 src0_sel:WORD_0 src1_sel:DWORD
	s_nop 1
	v_cndmask_b32_e32 v35, v3, v2, vcc
; %bb.1220:                             ;   in Loop: Header=BB12_1016 Depth=2
	s_or_b64 exec, exec, s[50:51]
	v_mov_b32_e32 v3, v41
	v_lshlrev_b32_e32 v2, 16, v3
	v_lshlrev_b32_e32 v4, 16, v45
	v_pk_mul_f32 v[4:5], v[2:3], v[4:5] op_sel_hi:[0,1]
	v_and_b32_e32 v2, 0x7f800000, v4
	v_cmp_ne_u32_e32 vcc, s66, v2
                                        ; implicit-def: $vgpr40
	s_and_saveexec_b64 s[50:51], vcc
	s_xor_b64 vcc, exec, s[50:51]
; %bb.1221:                             ;   in Loop: Header=BB12_1016 Depth=2
	v_bfe_u32 v2, v4, 16, 1
	v_add3_u32 v40, v4, v2, s67
                                        ; implicit-def: $vgpr4_vgpr5
; %bb.1222:                             ;   in Loop: Header=BB12_1016 Depth=2
	s_andn2_saveexec_b64 s[50:51], vcc
; %bb.1223:                             ;   in Loop: Header=BB12_1016 Depth=2
	v_or_b32_e32 v2, 0x10000, v4
	v_cmp_eq_u32_sdwa vcc, v4, v1 src0_sel:WORD_0 src1_sel:DWORD
	s_nop 1
	v_cndmask_b32_e32 v40, v2, v4, vcc
; %bb.1224:                             ;   in Loop: Header=BB12_1016 Depth=2
	s_or_b64 exec, exec, s[50:51]
	v_and_b32_e32 v2, 0xffff0000, v3
	v_and_b32_e32 v4, 0xffff0000, v45
	v_pk_mul_f32 v[2:3], v[2:3], v[4:5] op_sel_hi:[0,1]
	v_and_b32_e32 v3, 0x7f800000, v2
	v_cmp_ne_u32_e32 vcc, s66, v3
                                        ; implicit-def: $vgpr41
	s_and_saveexec_b64 s[50:51], vcc
	s_xor_b64 vcc, exec, s[50:51]
; %bb.1225:                             ;   in Loop: Header=BB12_1016 Depth=2
	v_bfe_u32 v3, v2, 16, 1
	v_add3_u32 v41, v2, v3, s67
                                        ; implicit-def: $vgpr2_vgpr3
; %bb.1226:                             ;   in Loop: Header=BB12_1016 Depth=2
	s_andn2_saveexec_b64 s[50:51], vcc
; %bb.1227:                             ;   in Loop: Header=BB12_1016 Depth=2
	v_or_b32_e32 v3, 0x10000, v2
	v_cmp_eq_u32_sdwa vcc, v2, v1 src0_sel:WORD_0 src1_sel:DWORD
	s_nop 1
	v_cndmask_b32_e32 v41, v3, v2, vcc
; %bb.1228:                             ;   in Loop: Header=BB12_1016 Depth=2
	s_or_b64 exec, exec, s[50:51]
	v_lshlrev_b32_e32 v2, 16, v42
	v_lshlrev_b32_e32 v4, 16, v46
	v_pk_mul_f32 v[2:3], v[2:3], v[4:5] op_sel_hi:[0,1]
	v_and_b32_e32 v3, 0x7f800000, v2
	v_cmp_ne_u32_e32 vcc, s66, v3
                                        ; implicit-def: $vgpr44
	s_and_saveexec_b64 s[50:51], vcc
	s_xor_b64 vcc, exec, s[50:51]
; %bb.1229:                             ;   in Loop: Header=BB12_1016 Depth=2
	v_bfe_u32 v3, v2, 16, 1
	v_add3_u32 v44, v2, v3, s67
                                        ; implicit-def: $vgpr2_vgpr3
; %bb.1230:                             ;   in Loop: Header=BB12_1016 Depth=2
	s_andn2_saveexec_b64 s[50:51], vcc
; %bb.1231:                             ;   in Loop: Header=BB12_1016 Depth=2
	v_or_b32_e32 v3, 0x10000, v2
	v_cmp_eq_u32_sdwa vcc, v2, v1 src0_sel:WORD_0 src1_sel:DWORD
	s_nop 1
	v_cndmask_b32_e32 v44, v3, v2, vcc
; %bb.1232:                             ;   in Loop: Header=BB12_1016 Depth=2
	s_or_b64 exec, exec, s[50:51]
	v_and_b32_e32 v2, 0xffff0000, v42
	v_and_b32_e32 v4, 0xffff0000, v46
	v_pk_mul_f32 v[2:3], v[2:3], v[4:5] op_sel_hi:[0,1]
	v_and_b32_e32 v3, 0x7f800000, v2
	v_cmp_ne_u32_e32 vcc, s66, v3
                                        ; implicit-def: $vgpr42
	s_and_saveexec_b64 s[50:51], vcc
	s_xor_b64 vcc, exec, s[50:51]
; %bb.1233:                             ;   in Loop: Header=BB12_1016 Depth=2
	v_bfe_u32 v3, v2, 16, 1
	v_add3_u32 v42, v2, v3, s67
                                        ; implicit-def: $vgpr2_vgpr3
; %bb.1234:                             ;   in Loop: Header=BB12_1016 Depth=2
	s_andn2_saveexec_b64 s[50:51], vcc
; %bb.1235:                             ;   in Loop: Header=BB12_1016 Depth=2
	v_or_b32_e32 v3, 0x10000, v2
	v_cmp_eq_u32_sdwa vcc, v2, v1 src0_sel:WORD_0 src1_sel:DWORD
	s_nop 1
	v_cndmask_b32_e32 v42, v3, v2, vcc
; %bb.1236:                             ;   in Loop: Header=BB12_1016 Depth=2
	s_or_b64 exec, exec, s[50:51]
	v_mov_b32_e32 v3, v47
	v_lshlrev_b32_e32 v2, 16, v43
	v_lshlrev_b32_e32 v4, 16, v3
	v_pk_mul_f32 v[4:5], v[2:3], v[4:5] op_sel_hi:[0,1]
	v_and_b32_e32 v2, 0x7f800000, v4
	v_cmp_ne_u32_e32 vcc, s66, v2
                                        ; implicit-def: $vgpr45
	s_and_saveexec_b64 s[50:51], vcc
	s_xor_b64 vcc, exec, s[50:51]
; %bb.1237:                             ;   in Loop: Header=BB12_1016 Depth=2
	v_bfe_u32 v2, v4, 16, 1
	v_add3_u32 v45, v4, v2, s67
                                        ; implicit-def: $vgpr4_vgpr5
; %bb.1238:                             ;   in Loop: Header=BB12_1016 Depth=2
	s_andn2_saveexec_b64 s[50:51], vcc
; %bb.1239:                             ;   in Loop: Header=BB12_1016 Depth=2
	v_or_b32_e32 v2, 0x10000, v4
	v_cmp_eq_u32_sdwa vcc, v4, v1 src0_sel:WORD_0 src1_sel:DWORD
	s_nop 1
	v_cndmask_b32_e32 v45, v2, v4, vcc
; %bb.1240:                             ;   in Loop: Header=BB12_1016 Depth=2
	s_or_b64 exec, exec, s[50:51]
	v_and_b32_e32 v2, 0xffff0000, v43
	v_and_b32_e32 v4, 0xffff0000, v3
	v_pk_mul_f32 v[2:3], v[2:3], v[4:5] op_sel_hi:[0,1]
	v_and_b32_e32 v3, 0x7f800000, v2
	v_cmp_ne_u32_e32 vcc, s66, v3
                                        ; implicit-def: $vgpr43
	s_and_saveexec_b64 s[50:51], vcc
	s_xor_b64 vcc, exec, s[50:51]
; %bb.1241:                             ;   in Loop: Header=BB12_1016 Depth=2
	v_bfe_u32 v3, v2, 16, 1
	v_add3_u32 v43, v2, v3, s67
                                        ; implicit-def: $vgpr2_vgpr3
; %bb.1242:                             ;   in Loop: Header=BB12_1016 Depth=2
	s_andn2_saveexec_b64 s[50:51], vcc
; %bb.1243:                             ;   in Loop: Header=BB12_1016 Depth=2
	v_or_b32_e32 v3, 0x10000, v2
	v_cmp_eq_u32_sdwa vcc, v2, v1 src0_sel:WORD_0 src1_sel:DWORD
	s_nop 1
	v_cndmask_b32_e32 v43, v3, v2, vcc
; %bb.1244:                             ;   in Loop: Header=BB12_1016 Depth=2
	s_or_b64 exec, exec, s[50:51]
	s_waitcnt vmcnt(0)
	v_lshlrev_b32_e32 v2, 16, v48
	v_lshlrev_b32_e32 v4, 16, v52
	v_pk_mul_f32 v[2:3], v[2:3], v[4:5] op_sel_hi:[0,1]
	v_and_b32_e32 v3, 0x7f800000, v2
	v_cmp_ne_u32_e32 vcc, s66, v3
                                        ; implicit-def: $vgpr46
	s_and_saveexec_b64 s[50:51], vcc
	s_xor_b64 vcc, exec, s[50:51]
; %bb.1245:                             ;   in Loop: Header=BB12_1016 Depth=2
	v_bfe_u32 v3, v2, 16, 1
	v_add3_u32 v46, v2, v3, s67
                                        ; implicit-def: $vgpr2_vgpr3
; %bb.1246:                             ;   in Loop: Header=BB12_1016 Depth=2
	s_andn2_saveexec_b64 s[50:51], vcc
; %bb.1247:                             ;   in Loop: Header=BB12_1016 Depth=2
	v_or_b32_e32 v3, 0x10000, v2
	v_cmp_eq_u32_sdwa vcc, v2, v1 src0_sel:WORD_0 src1_sel:DWORD
	s_nop 1
	v_cndmask_b32_e32 v46, v3, v2, vcc
; %bb.1248:                             ;   in Loop: Header=BB12_1016 Depth=2
	s_or_b64 exec, exec, s[50:51]
	v_and_b32_e32 v2, 0xffff0000, v48
	v_and_b32_e32 v4, 0xffff0000, v52
	v_pk_mul_f32 v[2:3], v[2:3], v[4:5] op_sel_hi:[0,1]
	v_and_b32_e32 v3, 0x7f800000, v2
	v_cmp_ne_u32_e32 vcc, s66, v3
                                        ; implicit-def: $vgpr48
	s_and_saveexec_b64 s[50:51], vcc
	s_xor_b64 vcc, exec, s[50:51]
; %bb.1249:                             ;   in Loop: Header=BB12_1016 Depth=2
	v_bfe_u32 v3, v2, 16, 1
	v_add3_u32 v48, v2, v3, s67
                                        ; implicit-def: $vgpr2_vgpr3
; %bb.1250:                             ;   in Loop: Header=BB12_1016 Depth=2
	s_andn2_saveexec_b64 s[50:51], vcc
; %bb.1251:                             ;   in Loop: Header=BB12_1016 Depth=2
	v_or_b32_e32 v3, 0x10000, v2
	v_cmp_eq_u32_sdwa vcc, v2, v1 src0_sel:WORD_0 src1_sel:DWORD
	s_nop 1
	v_cndmask_b32_e32 v48, v3, v2, vcc
; %bb.1252:                             ;   in Loop: Header=BB12_1016 Depth=2
	s_or_b64 exec, exec, s[50:51]
	v_mov_b32_e32 v3, v49
	v_lshlrev_b32_e32 v2, 16, v3
	v_lshlrev_b32_e32 v4, 16, v53
	v_pk_mul_f32 v[4:5], v[2:3], v[4:5] op_sel_hi:[0,1]
	v_and_b32_e32 v2, 0x7f800000, v4
	v_cmp_ne_u32_e32 vcc, s66, v2
                                        ; implicit-def: $vgpr49
	s_and_saveexec_b64 s[50:51], vcc
	s_xor_b64 vcc, exec, s[50:51]
; %bb.1253:                             ;   in Loop: Header=BB12_1016 Depth=2
	v_bfe_u32 v2, v4, 16, 1
	v_add3_u32 v49, v4, v2, s67
                                        ; implicit-def: $vgpr4_vgpr5
; %bb.1254:                             ;   in Loop: Header=BB12_1016 Depth=2
	s_andn2_saveexec_b64 s[50:51], vcc
; %bb.1255:                             ;   in Loop: Header=BB12_1016 Depth=2
	v_or_b32_e32 v2, 0x10000, v4
	v_cmp_eq_u32_sdwa vcc, v4, v1 src0_sel:WORD_0 src1_sel:DWORD
	s_nop 1
	v_cndmask_b32_e32 v49, v2, v4, vcc
; %bb.1256:                             ;   in Loop: Header=BB12_1016 Depth=2
	s_or_b64 exec, exec, s[50:51]
	v_and_b32_e32 v2, 0xffff0000, v3
	v_and_b32_e32 v4, 0xffff0000, v53
	v_pk_mul_f32 v[2:3], v[2:3], v[4:5] op_sel_hi:[0,1]
	v_and_b32_e32 v3, 0x7f800000, v2
	v_cmp_ne_u32_e32 vcc, s66, v3
                                        ; implicit-def: $vgpr52
	s_and_saveexec_b64 s[50:51], vcc
	s_xor_b64 vcc, exec, s[50:51]
; %bb.1257:                             ;   in Loop: Header=BB12_1016 Depth=2
	v_bfe_u32 v3, v2, 16, 1
	v_add3_u32 v52, v2, v3, s67
                                        ; implicit-def: $vgpr2_vgpr3
; %bb.1258:                             ;   in Loop: Header=BB12_1016 Depth=2
	s_andn2_saveexec_b64 s[50:51], vcc
; %bb.1259:                             ;   in Loop: Header=BB12_1016 Depth=2
	v_or_b32_e32 v3, 0x10000, v2
	v_cmp_eq_u32_sdwa vcc, v2, v1 src0_sel:WORD_0 src1_sel:DWORD
	s_nop 1
	v_cndmask_b32_e32 v52, v3, v2, vcc
; %bb.1260:                             ;   in Loop: Header=BB12_1016 Depth=2
	s_or_b64 exec, exec, s[50:51]
	v_lshlrev_b32_e32 v2, 16, v50
	v_lshlrev_b32_e32 v4, 16, v54
	v_pk_mul_f32 v[2:3], v[2:3], v[4:5] op_sel_hi:[0,1]
	v_and_b32_e32 v3, 0x7f800000, v2
	v_cmp_ne_u32_e32 vcc, s66, v3
                                        ; implicit-def: $vgpr53
	s_and_saveexec_b64 s[50:51], vcc
	s_xor_b64 vcc, exec, s[50:51]
; %bb.1261:                             ;   in Loop: Header=BB12_1016 Depth=2
	v_bfe_u32 v3, v2, 16, 1
	v_add3_u32 v53, v2, v3, s67
                                        ; implicit-def: $vgpr2_vgpr3
; %bb.1262:                             ;   in Loop: Header=BB12_1016 Depth=2
	s_andn2_saveexec_b64 s[50:51], vcc
; %bb.1263:                             ;   in Loop: Header=BB12_1016 Depth=2
	v_or_b32_e32 v3, 0x10000, v2
	v_cmp_eq_u32_sdwa vcc, v2, v1 src0_sel:WORD_0 src1_sel:DWORD
	s_nop 1
	v_cndmask_b32_e32 v53, v3, v2, vcc
; %bb.1264:                             ;   in Loop: Header=BB12_1016 Depth=2
	s_or_b64 exec, exec, s[50:51]
	v_and_b32_e32 v2, 0xffff0000, v50
	v_and_b32_e32 v4, 0xffff0000, v54
	v_pk_mul_f32 v[2:3], v[2:3], v[4:5] op_sel_hi:[0,1]
	v_and_b32_e32 v3, 0x7f800000, v2
	v_cmp_ne_u32_e32 vcc, s66, v3
                                        ; implicit-def: $vgpr50
	s_and_saveexec_b64 s[50:51], vcc
	s_xor_b64 vcc, exec, s[50:51]
; %bb.1265:                             ;   in Loop: Header=BB12_1016 Depth=2
	v_bfe_u32 v3, v2, 16, 1
	v_add3_u32 v50, v2, v3, s67
                                        ; implicit-def: $vgpr2_vgpr3
; %bb.1266:                             ;   in Loop: Header=BB12_1016 Depth=2
	s_andn2_saveexec_b64 s[50:51], vcc
; %bb.1267:                             ;   in Loop: Header=BB12_1016 Depth=2
	v_or_b32_e32 v3, 0x10000, v2
	v_cmp_eq_u32_sdwa vcc, v2, v1 src0_sel:WORD_0 src1_sel:DWORD
	s_nop 1
	v_cndmask_b32_e32 v50, v3, v2, vcc
; %bb.1268:                             ;   in Loop: Header=BB12_1016 Depth=2
	s_or_b64 exec, exec, s[50:51]
	v_mov_b32_e32 v3, v55
	v_lshlrev_b32_e32 v2, 16, v51
	v_lshlrev_b32_e32 v4, 16, v3
	v_pk_mul_f32 v[4:5], v[2:3], v[4:5] op_sel_hi:[0,1]
	v_and_b32_e32 v2, 0x7f800000, v4
	v_cmp_ne_u32_e32 vcc, s66, v2
                                        ; implicit-def: $vgpr54
	s_and_saveexec_b64 s[50:51], vcc
	s_xor_b64 vcc, exec, s[50:51]
; %bb.1269:                             ;   in Loop: Header=BB12_1016 Depth=2
	v_bfe_u32 v2, v4, 16, 1
	v_add3_u32 v54, v4, v2, s67
                                        ; implicit-def: $vgpr4_vgpr5
; %bb.1270:                             ;   in Loop: Header=BB12_1016 Depth=2
	s_andn2_saveexec_b64 s[50:51], vcc
; %bb.1271:                             ;   in Loop: Header=BB12_1016 Depth=2
	v_or_b32_e32 v2, 0x10000, v4
	v_cmp_eq_u32_sdwa vcc, v4, v1 src0_sel:WORD_0 src1_sel:DWORD
	s_nop 1
	v_cndmask_b32_e32 v54, v2, v4, vcc
; %bb.1272:                             ;   in Loop: Header=BB12_1016 Depth=2
	s_or_b64 exec, exec, s[50:51]
	v_and_b32_e32 v2, 0xffff0000, v51
	v_and_b32_e32 v4, 0xffff0000, v3
	v_pk_mul_f32 v[2:3], v[2:3], v[4:5] op_sel_hi:[0,1]
	v_and_b32_e32 v3, 0x7f800000, v2
	v_cmp_ne_u32_e32 vcc, s66, v3
                                        ; implicit-def: $vgpr4
	s_and_saveexec_b64 s[50:51], vcc
	s_xor_b64 vcc, exec, s[50:51]
; %bb.1273:                             ;   in Loop: Header=BB12_1016 Depth=2
	v_bfe_u32 v3, v2, 16, 1
	v_add3_u32 v4, v2, v3, s67
                                        ; implicit-def: $vgpr2_vgpr3
; %bb.1274:                             ;   in Loop: Header=BB12_1016 Depth=2
	s_andn2_saveexec_b64 s[50:51], vcc
	s_cbranch_execz .LBB12_1015
; %bb.1275:                             ;   in Loop: Header=BB12_1016 Depth=2
	v_or_b32_e32 v3, 0x10000, v2
	v_cmp_eq_u32_sdwa vcc, v2, v1 src0_sel:WORD_0 src1_sel:DWORD
	s_nop 1
	v_cndmask_b32_e32 v4, v3, v2, vcc
	s_branch .LBB12_1015
.LBB12_1276:                            ;   in Loop: Header=BB12_943 Depth=1
	s_or_b64 exec, exec, s[16:17]
	scratch_load_dword v48, off, s33 offset:364 ; 4-byte Folded Reload
	scratch_load_dword v49, off, s33 offset:380 ; 4-byte Folded Reload
	;; [unrolled: 1-line block ×8, first 2 shown]
	s_and_b64 s[16:17], s[18:19], exec
	v_mov_b32_e32 v55, 0x80
.LBB12_1277:                            ;   in Loop: Header=BB12_943 Depth=1
	s_or_b64 exec, exec, s[14:15]
	s_and_saveexec_b64 s[14:15], s[16:17]
	s_cbranch_execz .LBB12_1407
; %bb.1278:                             ;   in Loop: Header=BB12_943 Depth=1
	v_accvgpr_read_b32 v2, a52
	v_lshlrev_b32_e32 v0, 16, v56
	v_accvgpr_read_b32 v3, a53
	v_lshlrev_b32_e32 v2, 16, v2
	v_pk_mul_f32 v[2:3], v[0:1], v[2:3] op_sel_hi:[0,1]
	v_and_b32_e32 v0, 0x7f800000, v2
	v_accvgpr_read_b32 v4, a54
	v_cmp_ne_u32_e32 vcc, s66, v0
	v_accvgpr_read_b32 v5, a55
                                        ; implicit-def: $vgpr4
	s_and_saveexec_b64 s[16:17], vcc
	s_xor_b64 s[16:17], exec, s[16:17]
; %bb.1279:                             ;   in Loop: Header=BB12_943 Depth=1
	v_bfe_u32 v0, v2, 16, 1
	v_add3_u32 v4, v2, v0, s67
                                        ; implicit-def: $vgpr2_vgpr3
; %bb.1280:                             ;   in Loop: Header=BB12_943 Depth=1
	s_andn2_saveexec_b64 s[16:17], s[16:17]
; %bb.1281:                             ;   in Loop: Header=BB12_943 Depth=1
	v_or_b32_e32 v0, 0x10000, v2
	v_cmp_eq_u32_sdwa vcc, v2, v1 src0_sel:WORD_0 src1_sel:DWORD
	s_nop 1
	v_cndmask_b32_e32 v4, v0, v2, vcc
; %bb.1282:                             ;   in Loop: Header=BB12_943 Depth=1
	s_or_b64 exec, exec, s[16:17]
	v_accvgpr_read_b32 v6, a52
	v_mov_b32_e32 v0, v6
	v_mov_b32_e32 v3, v56
	v_and_b32_e32 v2, 0xffff0000, v3
	v_and_b32_e32 v0, 0xffff0000, v0
	v_pk_mul_f32 v[2:3], v[2:3], v[0:1] op_sel_hi:[0,1]
	v_and_b32_e32 v0, 0x7f800000, v2
	v_cmp_ne_u32_e32 vcc, s66, v0
	v_accvgpr_read_b32 v7, a53
	v_accvgpr_read_b32 v8, a54
	;; [unrolled: 1-line block ×3, first 2 shown]
                                        ; implicit-def: $vgpr5
	s_and_saveexec_b64 s[16:17], vcc
	s_xor_b64 s[16:17], exec, s[16:17]
; %bb.1283:                             ;   in Loop: Header=BB12_943 Depth=1
	v_bfe_u32 v0, v2, 16, 1
	v_add3_u32 v5, v2, v0, s67
                                        ; implicit-def: $vgpr2_vgpr3
; %bb.1284:                             ;   in Loop: Header=BB12_943 Depth=1
	s_andn2_saveexec_b64 s[16:17], s[16:17]
; %bb.1285:                             ;   in Loop: Header=BB12_943 Depth=1
	v_or_b32_e32 v0, 0x10000, v2
	v_cmp_eq_u32_sdwa vcc, v2, v1 src0_sel:WORD_0 src1_sel:DWORD
	s_nop 1
	v_cndmask_b32_e32 v5, v0, v2, vcc
; %bb.1286:                             ;   in Loop: Header=BB12_943 Depth=1
	s_or_b64 exec, exec, s[16:17]
	v_accvgpr_read_b32 v7, a53
	v_lshlrev_b32_e32 v0, 16, v57
	v_lshlrev_b32_e32 v2, 16, v7
	v_pk_mul_f32 v[2:3], v[0:1], v[2:3] op_sel_hi:[0,1]
	v_and_b32_e32 v0, 0x7f800000, v2
	v_cmp_ne_u32_e32 vcc, s66, v0
	v_accvgpr_read_b32 v8, a54
	v_accvgpr_read_b32 v9, a55
                                        ; implicit-def: $vgpr6
	s_and_saveexec_b64 s[16:17], vcc
	s_xor_b64 s[16:17], exec, s[16:17]
; %bb.1287:                             ;   in Loop: Header=BB12_943 Depth=1
	v_bfe_u32 v0, v2, 16, 1
	v_add3_u32 v6, v2, v0, s67
                                        ; implicit-def: $vgpr2_vgpr3
; %bb.1288:                             ;   in Loop: Header=BB12_943 Depth=1
	s_andn2_saveexec_b64 s[16:17], s[16:17]
; %bb.1289:                             ;   in Loop: Header=BB12_943 Depth=1
	v_or_b32_e32 v0, 0x10000, v2
	v_cmp_eq_u32_sdwa vcc, v2, v1 src0_sel:WORD_0 src1_sel:DWORD
	s_nop 1
	v_cndmask_b32_e32 v6, v0, v2, vcc
; %bb.1290:                             ;   in Loop: Header=BB12_943 Depth=1
	s_or_b64 exec, exec, s[16:17]
	v_accvgpr_read_b32 v7, a53
	v_mov_b32_e32 v0, v7
	v_and_b32_e32 v2, 0xffff0000, v57
	v_and_b32_e32 v0, 0xffff0000, v0
	v_pk_mul_f32 v[2:3], v[2:3], v[0:1] op_sel_hi:[0,1]
	v_and_b32_e32 v0, 0x7f800000, v2
	v_cmp_ne_u32_e32 vcc, s66, v0
	v_accvgpr_read_b32 v8, a54
	v_accvgpr_read_b32 v9, a55
                                        ; implicit-def: $vgpr7
	s_and_saveexec_b64 s[16:17], vcc
	s_xor_b64 s[16:17], exec, s[16:17]
; %bb.1291:                             ;   in Loop: Header=BB12_943 Depth=1
	v_bfe_u32 v0, v2, 16, 1
	v_add3_u32 v7, v2, v0, s67
                                        ; implicit-def: $vgpr2_vgpr3
; %bb.1292:                             ;   in Loop: Header=BB12_943 Depth=1
	s_andn2_saveexec_b64 s[16:17], s[16:17]
; %bb.1293:                             ;   in Loop: Header=BB12_943 Depth=1
	v_or_b32_e32 v0, 0x10000, v2
	v_cmp_eq_u32_sdwa vcc, v2, v1 src0_sel:WORD_0 src1_sel:DWORD
	s_nop 1
	v_cndmask_b32_e32 v7, v0, v2, vcc
; %bb.1294:                             ;   in Loop: Header=BB12_943 Depth=1
	s_or_b64 exec, exec, s[16:17]
	v_accvgpr_read_b32 v2, a54
	v_lshlrev_b32_e32 v0, 16, v58
	v_accvgpr_read_b32 v3, a55
	v_lshlrev_b32_e32 v2, 16, v2
	v_pk_mul_f32 v[2:3], v[0:1], v[2:3] op_sel_hi:[0,1]
	v_and_b32_e32 v0, 0x7f800000, v2
	v_cmp_ne_u32_e32 vcc, s66, v0
                                        ; implicit-def: $vgpr8
	s_and_saveexec_b64 s[16:17], vcc
	s_xor_b64 s[16:17], exec, s[16:17]
; %bb.1295:                             ;   in Loop: Header=BB12_943 Depth=1
	v_bfe_u32 v0, v2, 16, 1
	v_add3_u32 v8, v2, v0, s67
                                        ; implicit-def: $vgpr2_vgpr3
; %bb.1296:                             ;   in Loop: Header=BB12_943 Depth=1
	s_andn2_saveexec_b64 s[16:17], s[16:17]
; %bb.1297:                             ;   in Loop: Header=BB12_943 Depth=1
	v_or_b32_e32 v0, 0x10000, v2
	v_cmp_eq_u32_sdwa vcc, v2, v1 src0_sel:WORD_0 src1_sel:DWORD
	s_nop 1
	v_cndmask_b32_e32 v8, v0, v2, vcc
; %bb.1298:                             ;   in Loop: Header=BB12_943 Depth=1
	s_or_b64 exec, exec, s[16:17]
	v_accvgpr_read_b32 v2, a54
	v_accvgpr_read_b32 v3, a55
	v_mov_b32_e32 v0, v2
	v_mov_b32_e32 v3, v58
	v_and_b32_e32 v2, 0xffff0000, v3
	v_and_b32_e32 v0, 0xffff0000, v0
	v_pk_mul_f32 v[2:3], v[2:3], v[0:1] op_sel_hi:[0,1]
	v_and_b32_e32 v0, 0x7f800000, v2
	v_cmp_ne_u32_e32 vcc, s66, v0
                                        ; implicit-def: $vgpr9
	s_and_saveexec_b64 s[16:17], vcc
	s_xor_b64 s[16:17], exec, s[16:17]
; %bb.1299:                             ;   in Loop: Header=BB12_943 Depth=1
	v_bfe_u32 v0, v2, 16, 1
	v_add3_u32 v9, v2, v0, s67
                                        ; implicit-def: $vgpr2_vgpr3
; %bb.1300:                             ;   in Loop: Header=BB12_943 Depth=1
	s_andn2_saveexec_b64 s[16:17], s[16:17]
; %bb.1301:                             ;   in Loop: Header=BB12_943 Depth=1
	v_or_b32_e32 v0, 0x10000, v2
	v_cmp_eq_u32_sdwa vcc, v2, v1 src0_sel:WORD_0 src1_sel:DWORD
	s_nop 1
	v_cndmask_b32_e32 v9, v0, v2, vcc
; %bb.1302:                             ;   in Loop: Header=BB12_943 Depth=1
	s_or_b64 exec, exec, s[16:17]
	v_accvgpr_read_b32 v3, a55
	v_lshlrev_b32_e32 v0, 16, v59
	v_lshlrev_b32_e32 v2, 16, v3
	v_pk_mul_f32 v[2:3], v[0:1], v[2:3] op_sel_hi:[0,1]
	v_and_b32_e32 v0, 0x7f800000, v2
	v_cmp_ne_u32_e32 vcc, s66, v0
                                        ; implicit-def: $vgpr10
	s_and_saveexec_b64 s[16:17], vcc
	s_xor_b64 s[16:17], exec, s[16:17]
; %bb.1303:                             ;   in Loop: Header=BB12_943 Depth=1
	v_bfe_u32 v0, v2, 16, 1
	v_add3_u32 v10, v2, v0, s67
                                        ; implicit-def: $vgpr2_vgpr3
; %bb.1304:                             ;   in Loop: Header=BB12_943 Depth=1
	s_andn2_saveexec_b64 s[16:17], s[16:17]
; %bb.1305:                             ;   in Loop: Header=BB12_943 Depth=1
	v_or_b32_e32 v0, 0x10000, v2
	v_cmp_eq_u32_sdwa vcc, v2, v1 src0_sel:WORD_0 src1_sel:DWORD
	s_nop 1
	v_cndmask_b32_e32 v10, v0, v2, vcc
; %bb.1306:                             ;   in Loop: Header=BB12_943 Depth=1
	s_or_b64 exec, exec, s[16:17]
	v_accvgpr_read_b32 v2, a55
	v_and_b32_e32 v0, 0xffff0000, v59
	v_and_b32_e32 v2, 0xffff0000, v2
	v_pk_mul_f32 v[2:3], v[0:1], v[2:3] op_sel_hi:[0,1]
	v_and_b32_e32 v0, 0x7f800000, v2
	v_cmp_ne_u32_e32 vcc, s66, v0
                                        ; implicit-def: $vgpr11
	s_and_saveexec_b64 s[16:17], vcc
	s_xor_b64 s[16:17], exec, s[16:17]
; %bb.1307:                             ;   in Loop: Header=BB12_943 Depth=1
	v_bfe_u32 v0, v2, 16, 1
	v_add3_u32 v11, v2, v0, s67
                                        ; implicit-def: $vgpr2_vgpr3
; %bb.1308:                             ;   in Loop: Header=BB12_943 Depth=1
	s_andn2_saveexec_b64 s[16:17], s[16:17]
; %bb.1309:                             ;   in Loop: Header=BB12_943 Depth=1
	v_or_b32_e32 v0, 0x10000, v2
	v_cmp_eq_u32_sdwa vcc, v2, v1 src0_sel:WORD_0 src1_sel:DWORD
	s_nop 1
	v_cndmask_b32_e32 v11, v0, v2, vcc
; %bb.1310:                             ;   in Loop: Header=BB12_943 Depth=1
	s_or_b64 exec, exec, s[16:17]
	v_accvgpr_read_b32 v18, a20
	v_lshlrev_b32_e32 v0, 16, v36
	v_lshlrev_b32_e32 v2, 16, v18
	v_pk_mul_f32 v[2:3], v[0:1], v[2:3] op_sel_hi:[0,1]
	v_and_b32_e32 v0, 0x7f800000, v2
	v_cmp_ne_u32_e32 vcc, s66, v0
	v_accvgpr_read_b32 v19, a21
	v_accvgpr_read_b32 v20, a22
	;; [unrolled: 1-line block ×3, first 2 shown]
                                        ; implicit-def: $vgpr12
	s_and_saveexec_b64 s[16:17], vcc
	s_xor_b64 s[16:17], exec, s[16:17]
; %bb.1311:                             ;   in Loop: Header=BB12_943 Depth=1
	v_bfe_u32 v0, v2, 16, 1
	v_add3_u32 v12, v2, v0, s67
                                        ; implicit-def: $vgpr2_vgpr3
; %bb.1312:                             ;   in Loop: Header=BB12_943 Depth=1
	s_andn2_saveexec_b64 s[16:17], s[16:17]
; %bb.1313:                             ;   in Loop: Header=BB12_943 Depth=1
	v_or_b32_e32 v0, 0x10000, v2
	v_cmp_eq_u32_sdwa vcc, v2, v1 src0_sel:WORD_0 src1_sel:DWORD
	s_nop 1
	v_cndmask_b32_e32 v12, v0, v2, vcc
; %bb.1314:                             ;   in Loop: Header=BB12_943 Depth=1
	s_or_b64 exec, exec, s[16:17]
	v_accvgpr_read_b32 v18, a20
	v_mov_b32_e32 v0, v18
	v_mov_b32_e32 v3, v36
	v_and_b32_e32 v2, 0xffff0000, v3
	v_and_b32_e32 v0, 0xffff0000, v0
	v_pk_mul_f32 v[2:3], v[2:3], v[0:1] op_sel_hi:[0,1]
	v_and_b32_e32 v0, 0x7f800000, v2
	v_cmp_ne_u32_e32 vcc, s66, v0
	v_accvgpr_read_b32 v19, a21
	v_accvgpr_read_b32 v20, a22
	;; [unrolled: 1-line block ×3, first 2 shown]
                                        ; implicit-def: $vgpr13
	s_and_saveexec_b64 s[16:17], vcc
	s_xor_b64 s[16:17], exec, s[16:17]
; %bb.1315:                             ;   in Loop: Header=BB12_943 Depth=1
	v_bfe_u32 v0, v2, 16, 1
	v_add3_u32 v13, v2, v0, s67
                                        ; implicit-def: $vgpr2_vgpr3
; %bb.1316:                             ;   in Loop: Header=BB12_943 Depth=1
	s_andn2_saveexec_b64 s[16:17], s[16:17]
; %bb.1317:                             ;   in Loop: Header=BB12_943 Depth=1
	v_or_b32_e32 v0, 0x10000, v2
	v_cmp_eq_u32_sdwa vcc, v2, v1 src0_sel:WORD_0 src1_sel:DWORD
	s_nop 1
	v_cndmask_b32_e32 v13, v0, v2, vcc
; %bb.1318:                             ;   in Loop: Header=BB12_943 Depth=1
	s_or_b64 exec, exec, s[16:17]
	v_accvgpr_read_b32 v19, a21
	v_lshlrev_b32_e32 v0, 16, v37
	v_lshlrev_b32_e32 v2, 16, v19
	v_pk_mul_f32 v[2:3], v[0:1], v[2:3] op_sel_hi:[0,1]
	v_and_b32_e32 v0, 0x7f800000, v2
	v_cmp_ne_u32_e32 vcc, s66, v0
	v_accvgpr_read_b32 v20, a22
	v_accvgpr_read_b32 v21, a23
                                        ; implicit-def: $vgpr18
	s_and_saveexec_b64 s[16:17], vcc
	s_xor_b64 s[16:17], exec, s[16:17]
; %bb.1319:                             ;   in Loop: Header=BB12_943 Depth=1
	v_bfe_u32 v0, v2, 16, 1
	v_add3_u32 v18, v2, v0, s67
                                        ; implicit-def: $vgpr2_vgpr3
; %bb.1320:                             ;   in Loop: Header=BB12_943 Depth=1
	s_andn2_saveexec_b64 s[16:17], s[16:17]
; %bb.1321:                             ;   in Loop: Header=BB12_943 Depth=1
	v_or_b32_e32 v0, 0x10000, v2
	v_cmp_eq_u32_sdwa vcc, v2, v1 src0_sel:WORD_0 src1_sel:DWORD
	s_nop 1
	v_cndmask_b32_e32 v18, v0, v2, vcc
; %bb.1322:                             ;   in Loop: Header=BB12_943 Depth=1
	s_or_b64 exec, exec, s[16:17]
	v_accvgpr_read_b32 v19, a21
	v_mov_b32_e32 v0, v19
	v_and_b32_e32 v2, 0xffff0000, v37
	v_and_b32_e32 v0, 0xffff0000, v0
	v_pk_mul_f32 v[2:3], v[2:3], v[0:1] op_sel_hi:[0,1]
	v_and_b32_e32 v0, 0x7f800000, v2
	v_cmp_ne_u32_e32 vcc, s66, v0
	v_accvgpr_read_b32 v20, a22
	v_accvgpr_read_b32 v21, a23
                                        ; implicit-def: $vgpr19
	s_and_saveexec_b64 s[16:17], vcc
	s_xor_b64 s[16:17], exec, s[16:17]
; %bb.1323:                             ;   in Loop: Header=BB12_943 Depth=1
	v_bfe_u32 v0, v2, 16, 1
	v_add3_u32 v19, v2, v0, s67
                                        ; implicit-def: $vgpr2_vgpr3
; %bb.1324:                             ;   in Loop: Header=BB12_943 Depth=1
	s_andn2_saveexec_b64 s[16:17], s[16:17]
; %bb.1325:                             ;   in Loop: Header=BB12_943 Depth=1
	v_or_b32_e32 v0, 0x10000, v2
	v_cmp_eq_u32_sdwa vcc, v2, v1 src0_sel:WORD_0 src1_sel:DWORD
	s_nop 1
	v_cndmask_b32_e32 v19, v0, v2, vcc
; %bb.1326:                             ;   in Loop: Header=BB12_943 Depth=1
	s_or_b64 exec, exec, s[16:17]
	v_accvgpr_read_b32 v2, a22
	v_lshlrev_b32_e32 v0, 16, v38
	v_accvgpr_read_b32 v3, a23
	v_lshlrev_b32_e32 v2, 16, v2
	v_pk_mul_f32 v[2:3], v[0:1], v[2:3] op_sel_hi:[0,1]
	v_and_b32_e32 v0, 0x7f800000, v2
	v_cmp_ne_u32_e32 vcc, s66, v0
                                        ; implicit-def: $vgpr20
	s_and_saveexec_b64 s[16:17], vcc
	s_xor_b64 s[16:17], exec, s[16:17]
; %bb.1327:                             ;   in Loop: Header=BB12_943 Depth=1
	v_bfe_u32 v0, v2, 16, 1
	v_add3_u32 v20, v2, v0, s67
                                        ; implicit-def: $vgpr2_vgpr3
; %bb.1328:                             ;   in Loop: Header=BB12_943 Depth=1
	s_andn2_saveexec_b64 s[16:17], s[16:17]
; %bb.1329:                             ;   in Loop: Header=BB12_943 Depth=1
	v_or_b32_e32 v0, 0x10000, v2
	v_cmp_eq_u32_sdwa vcc, v2, v1 src0_sel:WORD_0 src1_sel:DWORD
	s_nop 1
	v_cndmask_b32_e32 v20, v0, v2, vcc
; %bb.1330:                             ;   in Loop: Header=BB12_943 Depth=1
	s_or_b64 exec, exec, s[16:17]
	v_accvgpr_read_b32 v2, a22
	v_accvgpr_read_b32 v3, a23
	v_mov_b32_e32 v0, v2
	v_mov_b32_e32 v3, v38
	v_and_b32_e32 v2, 0xffff0000, v3
	v_and_b32_e32 v0, 0xffff0000, v0
	v_pk_mul_f32 v[2:3], v[2:3], v[0:1] op_sel_hi:[0,1]
	v_and_b32_e32 v0, 0x7f800000, v2
	v_cmp_ne_u32_e32 vcc, s66, v0
                                        ; implicit-def: $vgpr21
	s_and_saveexec_b64 s[16:17], vcc
	s_xor_b64 s[16:17], exec, s[16:17]
; %bb.1331:                             ;   in Loop: Header=BB12_943 Depth=1
	v_bfe_u32 v0, v2, 16, 1
	v_add3_u32 v21, v2, v0, s67
                                        ; implicit-def: $vgpr2_vgpr3
; %bb.1332:                             ;   in Loop: Header=BB12_943 Depth=1
	s_andn2_saveexec_b64 s[16:17], s[16:17]
; %bb.1333:                             ;   in Loop: Header=BB12_943 Depth=1
	v_or_b32_e32 v0, 0x10000, v2
	v_cmp_eq_u32_sdwa vcc, v2, v1 src0_sel:WORD_0 src1_sel:DWORD
	s_nop 1
	v_cndmask_b32_e32 v21, v0, v2, vcc
; %bb.1334:                             ;   in Loop: Header=BB12_943 Depth=1
	s_or_b64 exec, exec, s[16:17]
	v_accvgpr_read_b32 v3, a23
	v_lshlrev_b32_e32 v0, 16, v39
	v_lshlrev_b32_e32 v2, 16, v3
	v_pk_mul_f32 v[2:3], v[0:1], v[2:3] op_sel_hi:[0,1]
	v_and_b32_e32 v0, 0x7f800000, v2
	v_cmp_ne_u32_e32 vcc, s66, v0
                                        ; implicit-def: $vgpr22
	s_and_saveexec_b64 s[16:17], vcc
	s_xor_b64 s[16:17], exec, s[16:17]
; %bb.1335:                             ;   in Loop: Header=BB12_943 Depth=1
	v_bfe_u32 v0, v2, 16, 1
	v_add3_u32 v22, v2, v0, s67
                                        ; implicit-def: $vgpr2_vgpr3
; %bb.1336:                             ;   in Loop: Header=BB12_943 Depth=1
	s_andn2_saveexec_b64 s[16:17], s[16:17]
; %bb.1337:                             ;   in Loop: Header=BB12_943 Depth=1
	v_or_b32_e32 v0, 0x10000, v2
	v_cmp_eq_u32_sdwa vcc, v2, v1 src0_sel:WORD_0 src1_sel:DWORD
	s_nop 1
	v_cndmask_b32_e32 v22, v0, v2, vcc
; %bb.1338:                             ;   in Loop: Header=BB12_943 Depth=1
	s_or_b64 exec, exec, s[16:17]
	v_accvgpr_read_b32 v2, a23
	v_and_b32_e32 v0, 0xffff0000, v39
	v_and_b32_e32 v2, 0xffff0000, v2
	v_pk_mul_f32 v[2:3], v[0:1], v[2:3] op_sel_hi:[0,1]
	v_and_b32_e32 v0, 0x7f800000, v2
	v_cmp_ne_u32_e32 vcc, s66, v0
                                        ; implicit-def: $vgpr23
	s_and_saveexec_b64 s[16:17], vcc
	s_xor_b64 s[16:17], exec, s[16:17]
; %bb.1339:                             ;   in Loop: Header=BB12_943 Depth=1
	v_bfe_u32 v0, v2, 16, 1
	v_add3_u32 v23, v2, v0, s67
                                        ; implicit-def: $vgpr2_vgpr3
; %bb.1340:                             ;   in Loop: Header=BB12_943 Depth=1
	s_andn2_saveexec_b64 s[16:17], s[16:17]
; %bb.1341:                             ;   in Loop: Header=BB12_943 Depth=1
	v_or_b32_e32 v0, 0x10000, v2
	v_cmp_eq_u32_sdwa vcc, v2, v1 src0_sel:WORD_0 src1_sel:DWORD
	s_nop 1
	v_cndmask_b32_e32 v23, v0, v2, vcc
; %bb.1342:                             ;   in Loop: Header=BB12_943 Depth=1
	s_or_b64 exec, exec, s[16:17]
	v_accvgpr_read_b32 v32, a48
	v_lshlrev_b32_e32 v0, 16, v26
	v_lshlrev_b32_e32 v2, 16, v32
	v_pk_mul_f32 v[2:3], v[0:1], v[2:3] op_sel_hi:[0,1]
	v_and_b32_e32 v0, 0x7f800000, v2
	v_cmp_ne_u32_e32 vcc, s66, v0
	v_accvgpr_read_b32 v33, a49
	v_accvgpr_read_b32 v34, a50
	;; [unrolled: 1-line block ×3, first 2 shown]
                                        ; implicit-def: $vgpr24
	s_and_saveexec_b64 s[16:17], vcc
	s_xor_b64 s[16:17], exec, s[16:17]
; %bb.1343:                             ;   in Loop: Header=BB12_943 Depth=1
	v_bfe_u32 v0, v2, 16, 1
	v_add3_u32 v24, v2, v0, s67
                                        ; implicit-def: $vgpr2_vgpr3
; %bb.1344:                             ;   in Loop: Header=BB12_943 Depth=1
	s_andn2_saveexec_b64 s[16:17], s[16:17]
; %bb.1345:                             ;   in Loop: Header=BB12_943 Depth=1
	v_or_b32_e32 v0, 0x10000, v2
	v_cmp_eq_u32_sdwa vcc, v2, v1 src0_sel:WORD_0 src1_sel:DWORD
	s_nop 1
	v_cndmask_b32_e32 v24, v0, v2, vcc
; %bb.1346:                             ;   in Loop: Header=BB12_943 Depth=1
	s_or_b64 exec, exec, s[16:17]
	v_accvgpr_read_b32 v32, a48
	v_mov_b32_e32 v0, v32
	v_mov_b32_e32 v3, v26
	v_and_b32_e32 v2, 0xffff0000, v3
	v_and_b32_e32 v0, 0xffff0000, v0
	v_pk_mul_f32 v[2:3], v[2:3], v[0:1] op_sel_hi:[0,1]
	v_and_b32_e32 v0, 0x7f800000, v2
	v_cmp_ne_u32_e32 vcc, s66, v0
	v_accvgpr_read_b32 v33, a49
	v_accvgpr_read_b32 v34, a50
	;; [unrolled: 1-line block ×3, first 2 shown]
                                        ; implicit-def: $vgpr25
	s_and_saveexec_b64 s[16:17], vcc
	s_xor_b64 s[16:17], exec, s[16:17]
; %bb.1347:                             ;   in Loop: Header=BB12_943 Depth=1
	v_bfe_u32 v0, v2, 16, 1
	v_add3_u32 v25, v2, v0, s67
                                        ; implicit-def: $vgpr2_vgpr3
; %bb.1348:                             ;   in Loop: Header=BB12_943 Depth=1
	s_andn2_saveexec_b64 s[16:17], s[16:17]
; %bb.1349:                             ;   in Loop: Header=BB12_943 Depth=1
	v_or_b32_e32 v0, 0x10000, v2
	v_cmp_eq_u32_sdwa vcc, v2, v1 src0_sel:WORD_0 src1_sel:DWORD
	s_nop 1
	v_cndmask_b32_e32 v25, v0, v2, vcc
; %bb.1350:                             ;   in Loop: Header=BB12_943 Depth=1
	s_or_b64 exec, exec, s[16:17]
	v_accvgpr_read_b32 v33, a49
	v_lshlrev_b32_e32 v0, 16, v27
	v_lshlrev_b32_e32 v2, 16, v33
	v_pk_mul_f32 v[2:3], v[0:1], v[2:3] op_sel_hi:[0,1]
	v_and_b32_e32 v0, 0x7f800000, v2
	v_cmp_ne_u32_e32 vcc, s66, v0
	v_accvgpr_read_b32 v34, a50
	v_accvgpr_read_b32 v35, a51
                                        ; implicit-def: $vgpr26
	s_and_saveexec_b64 s[16:17], vcc
	s_xor_b64 s[16:17], exec, s[16:17]
; %bb.1351:                             ;   in Loop: Header=BB12_943 Depth=1
	v_bfe_u32 v0, v2, 16, 1
	v_add3_u32 v26, v2, v0, s67
                                        ; implicit-def: $vgpr2_vgpr3
; %bb.1352:                             ;   in Loop: Header=BB12_943 Depth=1
	s_andn2_saveexec_b64 s[16:17], s[16:17]
; %bb.1353:                             ;   in Loop: Header=BB12_943 Depth=1
	v_or_b32_e32 v0, 0x10000, v2
	v_cmp_eq_u32_sdwa vcc, v2, v1 src0_sel:WORD_0 src1_sel:DWORD
	s_nop 1
	v_cndmask_b32_e32 v26, v0, v2, vcc
; %bb.1354:                             ;   in Loop: Header=BB12_943 Depth=1
	s_or_b64 exec, exec, s[16:17]
	v_accvgpr_read_b32 v33, a49
	v_mov_b32_e32 v0, v33
	v_and_b32_e32 v2, 0xffff0000, v27
	v_and_b32_e32 v0, 0xffff0000, v0
	v_pk_mul_f32 v[2:3], v[2:3], v[0:1] op_sel_hi:[0,1]
	v_and_b32_e32 v0, 0x7f800000, v2
	v_cmp_ne_u32_e32 vcc, s66, v0
	v_accvgpr_read_b32 v34, a50
	v_accvgpr_read_b32 v35, a51
                                        ; implicit-def: $vgpr27
	s_and_saveexec_b64 s[16:17], vcc
	s_xor_b64 s[16:17], exec, s[16:17]
; %bb.1355:                             ;   in Loop: Header=BB12_943 Depth=1
	v_bfe_u32 v0, v2, 16, 1
	v_add3_u32 v27, v2, v0, s67
                                        ; implicit-def: $vgpr2_vgpr3
; %bb.1356:                             ;   in Loop: Header=BB12_943 Depth=1
	s_andn2_saveexec_b64 s[16:17], s[16:17]
; %bb.1357:                             ;   in Loop: Header=BB12_943 Depth=1
	v_or_b32_e32 v0, 0x10000, v2
	v_cmp_eq_u32_sdwa vcc, v2, v1 src0_sel:WORD_0 src1_sel:DWORD
	s_nop 1
	v_cndmask_b32_e32 v27, v0, v2, vcc
; %bb.1358:                             ;   in Loop: Header=BB12_943 Depth=1
	s_or_b64 exec, exec, s[16:17]
	v_accvgpr_read_b32 v2, a50
	v_lshlrev_b32_e32 v0, 16, v28
	v_accvgpr_read_b32 v3, a51
	v_lshlrev_b32_e32 v2, 16, v2
	v_pk_mul_f32 v[2:3], v[0:1], v[2:3] op_sel_hi:[0,1]
	v_and_b32_e32 v0, 0x7f800000, v2
	v_cmp_ne_u32_e32 vcc, s66, v0
                                        ; implicit-def: $vgpr32
	s_and_saveexec_b64 s[16:17], vcc
	s_xor_b64 s[16:17], exec, s[16:17]
; %bb.1359:                             ;   in Loop: Header=BB12_943 Depth=1
	v_bfe_u32 v0, v2, 16, 1
	v_add3_u32 v32, v2, v0, s67
                                        ; implicit-def: $vgpr2_vgpr3
; %bb.1360:                             ;   in Loop: Header=BB12_943 Depth=1
	s_andn2_saveexec_b64 s[16:17], s[16:17]
; %bb.1361:                             ;   in Loop: Header=BB12_943 Depth=1
	v_or_b32_e32 v0, 0x10000, v2
	v_cmp_eq_u32_sdwa vcc, v2, v1 src0_sel:WORD_0 src1_sel:DWORD
	s_nop 1
	v_cndmask_b32_e32 v32, v0, v2, vcc
; %bb.1362:                             ;   in Loop: Header=BB12_943 Depth=1
	s_or_b64 exec, exec, s[16:17]
	v_accvgpr_read_b32 v2, a50
	v_accvgpr_read_b32 v3, a51
	v_mov_b32_e32 v0, v2
	v_mov_b32_e32 v3, v28
	v_and_b32_e32 v2, 0xffff0000, v3
	v_and_b32_e32 v0, 0xffff0000, v0
	v_pk_mul_f32 v[2:3], v[2:3], v[0:1] op_sel_hi:[0,1]
	v_and_b32_e32 v0, 0x7f800000, v2
	v_cmp_ne_u32_e32 vcc, s66, v0
                                        ; implicit-def: $vgpr28
	s_and_saveexec_b64 s[16:17], vcc
	s_xor_b64 s[16:17], exec, s[16:17]
; %bb.1363:                             ;   in Loop: Header=BB12_943 Depth=1
	v_bfe_u32 v0, v2, 16, 1
	v_add3_u32 v28, v2, v0, s67
                                        ; implicit-def: $vgpr2_vgpr3
; %bb.1364:                             ;   in Loop: Header=BB12_943 Depth=1
	s_andn2_saveexec_b64 s[16:17], s[16:17]
; %bb.1365:                             ;   in Loop: Header=BB12_943 Depth=1
	v_or_b32_e32 v0, 0x10000, v2
	v_cmp_eq_u32_sdwa vcc, v2, v1 src0_sel:WORD_0 src1_sel:DWORD
	s_nop 1
	v_cndmask_b32_e32 v28, v0, v2, vcc
; %bb.1366:                             ;   in Loop: Header=BB12_943 Depth=1
	s_or_b64 exec, exec, s[16:17]
	v_accvgpr_read_b32 v3, a51
	v_lshlrev_b32_e32 v0, 16, v29
	v_lshlrev_b32_e32 v2, 16, v3
	v_pk_mul_f32 v[2:3], v[0:1], v[2:3] op_sel_hi:[0,1]
	v_and_b32_e32 v0, 0x7f800000, v2
	v_cmp_ne_u32_e32 vcc, s66, v0
                                        ; implicit-def: $vgpr33
	s_and_saveexec_b64 s[16:17], vcc
	s_xor_b64 s[16:17], exec, s[16:17]
; %bb.1367:                             ;   in Loop: Header=BB12_943 Depth=1
	v_bfe_u32 v0, v2, 16, 1
	v_add3_u32 v33, v2, v0, s67
                                        ; implicit-def: $vgpr2_vgpr3
; %bb.1368:                             ;   in Loop: Header=BB12_943 Depth=1
	s_andn2_saveexec_b64 s[16:17], s[16:17]
; %bb.1369:                             ;   in Loop: Header=BB12_943 Depth=1
	v_or_b32_e32 v0, 0x10000, v2
	v_cmp_eq_u32_sdwa vcc, v2, v1 src0_sel:WORD_0 src1_sel:DWORD
	s_nop 1
	v_cndmask_b32_e32 v33, v0, v2, vcc
; %bb.1370:                             ;   in Loop: Header=BB12_943 Depth=1
	s_or_b64 exec, exec, s[16:17]
	v_accvgpr_read_b32 v2, a51
	v_and_b32_e32 v0, 0xffff0000, v29
	v_and_b32_e32 v2, 0xffff0000, v2
	v_pk_mul_f32 v[2:3], v[0:1], v[2:3] op_sel_hi:[0,1]
	v_and_b32_e32 v0, 0x7f800000, v2
	v_cmp_ne_u32_e32 vcc, s66, v0
                                        ; implicit-def: $vgpr29
	s_and_saveexec_b64 s[16:17], vcc
	s_xor_b64 s[16:17], exec, s[16:17]
; %bb.1371:                             ;   in Loop: Header=BB12_943 Depth=1
	v_bfe_u32 v0, v2, 16, 1
	v_add3_u32 v29, v2, v0, s67
                                        ; implicit-def: $vgpr2_vgpr3
; %bb.1372:                             ;   in Loop: Header=BB12_943 Depth=1
	s_andn2_saveexec_b64 s[16:17], s[16:17]
; %bb.1373:                             ;   in Loop: Header=BB12_943 Depth=1
	v_or_b32_e32 v0, 0x10000, v2
	v_cmp_eq_u32_sdwa vcc, v2, v1 src0_sel:WORD_0 src1_sel:DWORD
	s_nop 1
	v_cndmask_b32_e32 v29, v0, v2, vcc
; %bb.1374:                             ;   in Loop: Header=BB12_943 Depth=1
	s_or_b64 exec, exec, s[16:17]
	v_accvgpr_read_b32 v34, a40
	v_lshlrev_b32_e32 v0, 16, v14
	v_lshlrev_b32_e32 v2, 16, v34
	v_pk_mul_f32 v[2:3], v[0:1], v[2:3] op_sel_hi:[0,1]
	v_and_b32_e32 v0, 0x7f800000, v2
	v_cmp_ne_u32_e32 vcc, s66, v0
	v_accvgpr_read_b32 v35, a41
	v_accvgpr_read_b32 v36, a42
	;; [unrolled: 1-line block ×3, first 2 shown]
                                        ; implicit-def: $vgpr34
	s_and_saveexec_b64 s[16:17], vcc
	s_xor_b64 s[16:17], exec, s[16:17]
; %bb.1375:                             ;   in Loop: Header=BB12_943 Depth=1
	v_bfe_u32 v0, v2, 16, 1
	v_add3_u32 v34, v2, v0, s67
                                        ; implicit-def: $vgpr2_vgpr3
; %bb.1376:                             ;   in Loop: Header=BB12_943 Depth=1
	s_andn2_saveexec_b64 s[16:17], s[16:17]
; %bb.1377:                             ;   in Loop: Header=BB12_943 Depth=1
	v_or_b32_e32 v0, 0x10000, v2
	v_cmp_eq_u32_sdwa vcc, v2, v1 src0_sel:WORD_0 src1_sel:DWORD
	s_nop 1
	v_cndmask_b32_e32 v34, v0, v2, vcc
; %bb.1378:                             ;   in Loop: Header=BB12_943 Depth=1
	s_or_b64 exec, exec, s[16:17]
	v_accvgpr_read_b32 v36, a40
	v_mov_b32_e32 v0, v36
	v_mov_b32_e32 v3, v14
	v_and_b32_e32 v2, 0xffff0000, v3
	v_and_b32_e32 v0, 0xffff0000, v0
	v_pk_mul_f32 v[2:3], v[2:3], v[0:1] op_sel_hi:[0,1]
	v_and_b32_e32 v0, 0x7f800000, v2
	v_cmp_ne_u32_e32 vcc, s66, v0
	v_accvgpr_read_b32 v37, a41
	v_accvgpr_read_b32 v38, a42
	v_accvgpr_read_b32 v39, a43
                                        ; implicit-def: $vgpr14
	s_and_saveexec_b64 s[16:17], vcc
	s_xor_b64 s[16:17], exec, s[16:17]
; %bb.1379:                             ;   in Loop: Header=BB12_943 Depth=1
	v_bfe_u32 v0, v2, 16, 1
	v_add3_u32 v14, v2, v0, s67
                                        ; implicit-def: $vgpr2_vgpr3
; %bb.1380:                             ;   in Loop: Header=BB12_943 Depth=1
	s_andn2_saveexec_b64 s[16:17], s[16:17]
; %bb.1381:                             ;   in Loop: Header=BB12_943 Depth=1
	v_or_b32_e32 v0, 0x10000, v2
	v_cmp_eq_u32_sdwa vcc, v2, v1 src0_sel:WORD_0 src1_sel:DWORD
	s_nop 1
	v_cndmask_b32_e32 v14, v0, v2, vcc
; %bb.1382:                             ;   in Loop: Header=BB12_943 Depth=1
	s_or_b64 exec, exec, s[16:17]
	v_accvgpr_read_b32 v35, a41
	v_lshlrev_b32_e32 v0, 16, v15
	v_lshlrev_b32_e32 v2, 16, v35
	v_pk_mul_f32 v[2:3], v[0:1], v[2:3] op_sel_hi:[0,1]
	v_and_b32_e32 v0, 0x7f800000, v2
	v_cmp_ne_u32_e32 vcc, s66, v0
	v_accvgpr_read_b32 v36, a42
	v_accvgpr_read_b32 v37, a43
                                        ; implicit-def: $vgpr35
	s_and_saveexec_b64 s[16:17], vcc
	s_xor_b64 s[16:17], exec, s[16:17]
; %bb.1383:                             ;   in Loop: Header=BB12_943 Depth=1
	v_bfe_u32 v0, v2, 16, 1
	v_add3_u32 v35, v2, v0, s67
                                        ; implicit-def: $vgpr2_vgpr3
; %bb.1384:                             ;   in Loop: Header=BB12_943 Depth=1
	s_andn2_saveexec_b64 s[16:17], s[16:17]
; %bb.1385:                             ;   in Loop: Header=BB12_943 Depth=1
	v_or_b32_e32 v0, 0x10000, v2
	v_cmp_eq_u32_sdwa vcc, v2, v1 src0_sel:WORD_0 src1_sel:DWORD
	s_nop 1
	v_cndmask_b32_e32 v35, v0, v2, vcc
; %bb.1386:                             ;   in Loop: Header=BB12_943 Depth=1
	s_or_b64 exec, exec, s[16:17]
	v_accvgpr_read_b32 v37, a41
	v_mov_b32_e32 v0, v37
	v_and_b32_e32 v2, 0xffff0000, v15
	v_and_b32_e32 v0, 0xffff0000, v0
	v_pk_mul_f32 v[2:3], v[2:3], v[0:1] op_sel_hi:[0,1]
	v_and_b32_e32 v0, 0x7f800000, v2
	v_cmp_ne_u32_e32 vcc, s66, v0
	v_accvgpr_read_b32 v38, a42
	v_accvgpr_read_b32 v39, a43
                                        ; implicit-def: $vgpr15
	s_and_saveexec_b64 s[16:17], vcc
	s_xor_b64 s[16:17], exec, s[16:17]
; %bb.1387:                             ;   in Loop: Header=BB12_943 Depth=1
	v_bfe_u32 v0, v2, 16, 1
	v_add3_u32 v15, v2, v0, s67
                                        ; implicit-def: $vgpr2_vgpr3
; %bb.1388:                             ;   in Loop: Header=BB12_943 Depth=1
	s_andn2_saveexec_b64 s[16:17], s[16:17]
; %bb.1389:                             ;   in Loop: Header=BB12_943 Depth=1
	v_or_b32_e32 v0, 0x10000, v2
	v_cmp_eq_u32_sdwa vcc, v2, v1 src0_sel:WORD_0 src1_sel:DWORD
	s_nop 1
	v_cndmask_b32_e32 v15, v0, v2, vcc
; %bb.1390:                             ;   in Loop: Header=BB12_943 Depth=1
	s_or_b64 exec, exec, s[16:17]
	v_accvgpr_read_b32 v2, a42
	v_lshlrev_b32_e32 v0, 16, v16
	v_accvgpr_read_b32 v3, a43
	v_lshlrev_b32_e32 v2, 16, v2
	v_pk_mul_f32 v[2:3], v[0:1], v[2:3] op_sel_hi:[0,1]
	v_and_b32_e32 v0, 0x7f800000, v2
	v_cmp_ne_u32_e32 vcc, s66, v0
                                        ; implicit-def: $vgpr36
	s_and_saveexec_b64 s[16:17], vcc
	s_xor_b64 s[16:17], exec, s[16:17]
; %bb.1391:                             ;   in Loop: Header=BB12_943 Depth=1
	v_bfe_u32 v0, v2, 16, 1
	v_add3_u32 v36, v2, v0, s67
                                        ; implicit-def: $vgpr2_vgpr3
; %bb.1392:                             ;   in Loop: Header=BB12_943 Depth=1
	s_andn2_saveexec_b64 s[16:17], s[16:17]
; %bb.1393:                             ;   in Loop: Header=BB12_943 Depth=1
	v_or_b32_e32 v0, 0x10000, v2
	v_cmp_eq_u32_sdwa vcc, v2, v1 src0_sel:WORD_0 src1_sel:DWORD
	s_nop 1
	v_cndmask_b32_e32 v36, v0, v2, vcc
; %bb.1394:                             ;   in Loop: Header=BB12_943 Depth=1
	s_or_b64 exec, exec, s[16:17]
	v_accvgpr_read_b32 v2, a42
	v_accvgpr_read_b32 v3, a43
	v_mov_b32_e32 v0, v2
	v_mov_b32_e32 v3, v16
	v_and_b32_e32 v2, 0xffff0000, v3
	v_and_b32_e32 v0, 0xffff0000, v0
	v_pk_mul_f32 v[2:3], v[2:3], v[0:1] op_sel_hi:[0,1]
	v_and_b32_e32 v0, 0x7f800000, v2
	v_cmp_ne_u32_e32 vcc, s66, v0
                                        ; implicit-def: $vgpr16
	s_and_saveexec_b64 s[16:17], vcc
	s_xor_b64 s[16:17], exec, s[16:17]
; %bb.1395:                             ;   in Loop: Header=BB12_943 Depth=1
	v_bfe_u32 v0, v2, 16, 1
	v_add3_u32 v16, v2, v0, s67
                                        ; implicit-def: $vgpr2_vgpr3
; %bb.1396:                             ;   in Loop: Header=BB12_943 Depth=1
	s_andn2_saveexec_b64 s[16:17], s[16:17]
; %bb.1397:                             ;   in Loop: Header=BB12_943 Depth=1
	v_or_b32_e32 v0, 0x10000, v2
	v_cmp_eq_u32_sdwa vcc, v2, v1 src0_sel:WORD_0 src1_sel:DWORD
	s_nop 1
	v_cndmask_b32_e32 v16, v0, v2, vcc
; %bb.1398:                             ;   in Loop: Header=BB12_943 Depth=1
	s_or_b64 exec, exec, s[16:17]
	v_accvgpr_read_b32 v3, a43
	v_lshlrev_b32_e32 v0, 16, v17
	v_lshlrev_b32_e32 v2, 16, v3
	v_pk_mul_f32 v[2:3], v[0:1], v[2:3] op_sel_hi:[0,1]
	v_and_b32_e32 v0, 0x7f800000, v2
	v_cmp_ne_u32_e32 vcc, s66, v0
                                        ; implicit-def: $vgpr0
	s_and_saveexec_b64 s[16:17], vcc
	s_xor_b64 s[16:17], exec, s[16:17]
; %bb.1399:                             ;   in Loop: Header=BB12_943 Depth=1
	v_bfe_u32 v0, v2, 16, 1
	v_add3_u32 v0, v2, v0, s67
                                        ; implicit-def: $vgpr2_vgpr3
; %bb.1400:                             ;   in Loop: Header=BB12_943 Depth=1
	s_andn2_saveexec_b64 s[16:17], s[16:17]
; %bb.1401:                             ;   in Loop: Header=BB12_943 Depth=1
	v_or_b32_e32 v0, 0x10000, v2
	v_cmp_eq_u32_sdwa vcc, v2, v1 src0_sel:WORD_0 src1_sel:DWORD
	s_nop 1
	v_cndmask_b32_e32 v0, v0, v2, vcc
; %bb.1402:                             ;   in Loop: Header=BB12_943 Depth=1
	s_or_b64 exec, exec, s[16:17]
	v_accvgpr_read_b32 v2, a43
	v_and_b32_e32 v38, 0xffff0000, v17
	v_and_b32_e32 v2, 0xffff0000, v2
	v_pk_mul_f32 v[2:3], v[38:39], v[2:3] op_sel_hi:[0,1]
	v_and_b32_e32 v3, 0x7f800000, v2
	v_cmp_ne_u32_e32 vcc, s66, v3
                                        ; implicit-def: $vgpr17
	s_and_saveexec_b64 s[16:17], vcc
	s_xor_b64 s[16:17], exec, s[16:17]
; %bb.1403:                             ;   in Loop: Header=BB12_943 Depth=1
	v_bfe_u32 v3, v2, 16, 1
	v_add3_u32 v17, v2, v3, s67
                                        ; implicit-def: $vgpr2_vgpr3
; %bb.1404:                             ;   in Loop: Header=BB12_943 Depth=1
	s_andn2_saveexec_b64 s[16:17], s[16:17]
; %bb.1405:                             ;   in Loop: Header=BB12_943 Depth=1
	v_or_b32_e32 v3, 0x10000, v2
	v_cmp_eq_u32_sdwa vcc, v2, v1 src0_sel:WORD_0 src1_sel:DWORD
	s_nop 1
	v_cndmask_b32_e32 v17, v3, v2, vcc
; %bb.1406:                             ;   in Loop: Header=BB12_943 Depth=1
	s_or_b64 exec, exec, s[16:17]
	v_lshrrev_b32_e32 v2, 16, v26
	v_and_or_b32 v27, v27, s69, v2
	v_lshrrev_b32_e32 v2, 16, v24
	v_and_or_b32 v26, v25, s69, v2
	;; [unrolled: 2-line block ×10, first 2 shown]
	v_lshrrev_b32_e32 v4, 16, v8
	v_lshrrev_b32_e32 v5, 16, v10
	;; [unrolled: 1-line block ×3, first 2 shown]
	v_and_or_b32 v4, v9, s69, v4
	v_and_or_b32 v5, v11, s69, v5
	;; [unrolled: 1-line block ×3, first 2 shown]
	v_lshrrev_b32_e32 v6, 16, v34
	v_lshrrev_b32_e32 v8, 16, v36
	;; [unrolled: 1-line block ×3, first 2 shown]
	v_and_or_b32 v6, v14, s69, v6
	v_and_or_b32 v8, v16, s69, v8
	;; [unrolled: 1-line block ×3, first 2 shown]
	global_store_dwordx4 v[30:31], v[2:5], off nt
	global_store_dwordx4 v[30:31], v[18:21], off offset:1024 nt
	global_store_dwordx4 v[30:31], v[26:29], off offset:2048 nt
	;; [unrolled: 1-line block ×3, first 2 shown]
.LBB12_1407:                            ;   in Loop: Header=BB12_943 Depth=1
	s_or_b64 exec, exec, s[14:15]
	scratch_load_dword v0, off, s33 offset:328 ; 4-byte Folded Reload
	s_mov_b64 s[14:15], 0
	v_mov_b32_e32 v6, 0
                                        ; implicit-def: $vgpr4
                                        ; implicit-def: $vgpr2
	s_waitcnt vmcnt(0)
	v_lshlrev_b32_e32 v18, 12, v0
	v_cmp_ne_u32_e32 vcc, v47, v18
	s_mov_b64 s[48:49], exec
	scratch_load_dwordx2 v[26:27], off, s33 offset:384 ; 8-byte Folded Reload
	scratch_load_dwordx2 v[28:29], off, s33 offset:392 ; 8-byte Folded Reload
	;; [unrolled: 1-line block ×5, first 2 shown]
	scratch_load_dword v30, off, s33 offset:324 ; 4-byte Folded Reload
	s_and_b64 s[16:17], s[48:49], vcc
	s_mov_b64 exec, s[16:17]
	s_cbranch_execz .LBB12_1522
; %bb.1408:                             ;   in Loop: Header=BB12_943 Depth=1
	v_lshlrev_b32_e32 v0, 6, v52
	v_sub_u32_e32 v0, v49, v0
	v_ashrrev_i32_e32 v2, 31, v0
	v_lshrrev_b32_e32 v2, 26, v2
	v_add_u32_e32 v2, v0, v2
	v_ashrrev_i32_e32 v4, 6, v2
	v_and_b32_e32 v2, 0xffffffc0, v2
	v_sub_u32_e32 v0, v0, v2
	v_lshlrev_b32_e32 v2, 4, v0
	v_sub_u32_e32 v3, v47, v18
	v_lshl_add_u32 v5, v4, 10, v2
	v_add_u32_e32 v2, v5, v18
	v_sub_u32_e32 v22, v3, v5
	v_ashrrev_i32_e32 v5, 31, v3
	v_lshrrev_b32_e32 v5, 22, v5
	v_add_u32_e32 v5, v3, v5
	v_and_b32_e32 v19, 0xfffffc00, v5
	v_sub_u32_e32 v20, v3, v19
	v_ashrrev_i32_e32 v6, 10, v5
	v_cmp_lt_i32_e64 s[14:15], 15, v20
	v_ashrrev_i32_e32 v3, 31, v2
	s_mov_b64 s[18:19], 0
	v_addc_co_u32_e64 v5, vcc, 0, v6, s[14:15]
	v_sub_u32_e32 v21, v5, v4
	scratch_load_dwordx2 v[4:5], off, s33 offset:296 ; 8-byte Folded Reload
	v_cmp_lt_i32_e32 vcc, 15, v22
	s_waitcnt vmcnt(0)
	v_lshl_add_u64 v[10:11], v[2:3], 0, v[4:5]
	s_and_saveexec_b64 s[50:51], vcc
	s_cbranch_execz .LBB12_1485
; %bb.1409:                             ;   in Loop: Header=BB12_943 Depth=1
	s_trap 2
	ds_read_b128 v[4:7], v0
	s_mov_b64 s[56:57], 0
	s_mov_b64 s[52:53], 0
                                        ; implicit-def: $sgpr54_sgpr55
	s_waitcnt lgkmcnt(0)
	v_lshl_add_u64 v[12:13], v[4:5], 0, v[2:3]
	v_lshl_add_u64 v[14:15], v[6:7], 0, v[2:3]
	s_branch .LBB12_1411
.LBB12_1410:                            ;   in Loop: Header=BB12_1411 Depth=2
	s_or_b64 exec, exec, s[16:17]
	v_cmp_gt_i32_e32 vcc, 16, v22
	s_or_b64 s[52:53], vcc, s[52:53]
	s_andn2_b64 s[16:17], s[54:55], exec
	s_and_b64 s[18:19], s[56:57], exec
	s_or_b64 s[54:55], s[16:17], s[18:19]
	s_andn2_b64 exec, exec, s[52:53]
	s_cbranch_execz .LBB12_1484
.LBB12_1411:                            ;   Parent Loop BB12_943 Depth=1
                                        ; =>  This Loop Header: Depth=2
                                        ;       Child Loop BB12_1412 Depth 3
                                        ;       Child Loop BB12_1449 Depth 3
	s_add_i32 s16, s33, 0xc0
	v_mov_b32_e32 v2, s16
	s_mov_b64 s[58:59], -1
	s_mov_b64 s[60:61], 0
.LBB12_1412:                            ;   Parent Loop BB12_943 Depth=1
                                        ;     Parent Loop BB12_1411 Depth=2
                                        ; =>    This Inner Loop Header: Depth=3
	s_cmp_eq_u32 s60, 1
	s_cselect_b64 vcc, -1, 0
	v_cndmask_b32_e32 v9, v13, v15, vcc
	v_cndmask_b32_e32 v8, v12, v14, vcc
	global_load_dwordx4 v[4:7], v[8:9], off nt
	s_cmp_eq_u32 s60, 0
	v_lshl_add_u64 v[8:9], v[8:9], 0, s[34:35]
	s_cselect_b64 s[16:17], -1, 0
	s_and_b64 s[18:19], exec, s[58:59]
	s_mov_b64 s[60:61], 1
	s_mov_b64 s[58:59], 0
	v_cndmask_b32_e64 v13, v13, v9, s[16:17]
	v_cndmask_b32_e64 v12, v12, v8, s[16:17]
	v_cndmask_b32_e32 v15, v15, v9, vcc
	v_cndmask_b32_e32 v14, v14, v8, vcc
	s_mov_b64 vcc, s[18:19]
	s_waitcnt vmcnt(0)
	scratch_store_dwordx4 v2, v[4:7], off
	v_mov_b32_e32 v2, v51
	s_cbranch_vccnz .LBB12_1412
; %bb.1413:                             ;   in Loop: Header=BB12_1411 Depth=2
	s_and_saveexec_b64 s[16:17], s[56:57]
	s_cbranch_execz .LBB12_1447
; %bb.1414:                             ;   in Loop: Header=BB12_1411 Depth=2
	scratch_load_dwordx4 v[2:5], off, s33 offset:240
	scratch_load_dwordx4 v[6:9], off, s33 offset:224
                                        ; implicit-def: $vgpr23
	s_waitcnt vmcnt(1)
	v_lshlrev_b32_e32 v16, 16, v2
	s_waitcnt vmcnt(0)
	v_lshlrev_b32_e32 v24, 16, v6
	v_pk_mul_f32 v[16:17], v[16:17], v[24:25] op_sel_hi:[0,1]
	v_and_b32_e32 v17, 0x7f800000, v16
	v_cmp_ne_u32_e32 vcc, s66, v17
	s_and_saveexec_b64 s[18:19], vcc
	s_xor_b64 s[18:19], exec, s[18:19]
; %bb.1415:                             ;   in Loop: Header=BB12_1411 Depth=2
	v_bfe_u32 v17, v16, 16, 1
	v_add3_u32 v23, v16, v17, s67
                                        ; implicit-def: $vgpr16_vgpr17
; %bb.1416:                             ;   in Loop: Header=BB12_1411 Depth=2
	s_andn2_saveexec_b64 s[18:19], s[18:19]
; %bb.1417:                             ;   in Loop: Header=BB12_1411 Depth=2
	v_or_b32_e32 v17, 0x10000, v16
	v_cmp_eq_u32_sdwa vcc, v16, v1 src0_sel:WORD_0 src1_sel:DWORD
	s_nop 1
	v_cndmask_b32_e32 v23, v17, v16, vcc
; %bb.1418:                             ;   in Loop: Header=BB12_1411 Depth=2
	s_or_b64 exec, exec, s[18:19]
	v_and_b32_e32 v2, 0xffff0000, v2
	v_and_b32_e32 v6, 0xffff0000, v6
	v_pk_mul_f32 v[16:17], v[2:3], v[6:7] op_sel_hi:[0,1]
	v_and_b32_e32 v2, 0x7f800000, v16
	v_cmp_ne_u32_e32 vcc, s66, v2
                                        ; implicit-def: $vgpr24
	s_and_saveexec_b64 s[18:19], vcc
	s_xor_b64 s[18:19], exec, s[18:19]
; %bb.1419:                             ;   in Loop: Header=BB12_1411 Depth=2
	v_bfe_u32 v2, v16, 16, 1
	v_add3_u32 v24, v16, v2, s67
                                        ; implicit-def: $vgpr16_vgpr17
; %bb.1420:                             ;   in Loop: Header=BB12_1411 Depth=2
	s_andn2_saveexec_b64 s[18:19], s[18:19]
; %bb.1421:                             ;   in Loop: Header=BB12_1411 Depth=2
	v_or_b32_e32 v2, 0x10000, v16
	v_cmp_eq_u32_sdwa vcc, v16, v1 src0_sel:WORD_0 src1_sel:DWORD
	s_nop 1
	v_cndmask_b32_e32 v24, v2, v16, vcc
; %bb.1422:                             ;   in Loop: Header=BB12_1411 Depth=2
	s_or_b64 exec, exec, s[18:19]
	v_lshlrev_b32_e32 v2, 16, v3
	v_lshlrev_b32_e32 v6, 16, v7
	v_pk_mul_f32 v[16:17], v[2:3], v[6:7] op_sel_hi:[0,1]
	v_and_b32_e32 v2, 0x7f800000, v16
	v_cmp_ne_u32_e32 vcc, s66, v2
                                        ; implicit-def: $vgpr25
	s_and_saveexec_b64 s[18:19], vcc
	s_xor_b64 s[18:19], exec, s[18:19]
; %bb.1423:                             ;   in Loop: Header=BB12_1411 Depth=2
	v_bfe_u32 v2, v16, 16, 1
	v_add3_u32 v25, v16, v2, s67
                                        ; implicit-def: $vgpr16_vgpr17
; %bb.1424:                             ;   in Loop: Header=BB12_1411 Depth=2
	s_andn2_saveexec_b64 s[18:19], s[18:19]
; %bb.1425:                             ;   in Loop: Header=BB12_1411 Depth=2
	v_or_b32_e32 v2, 0x10000, v16
	v_cmp_eq_u32_sdwa vcc, v16, v1 src0_sel:WORD_0 src1_sel:DWORD
	s_nop 1
	v_cndmask_b32_e32 v25, v2, v16, vcc
; %bb.1426:                             ;   in Loop: Header=BB12_1411 Depth=2
	s_or_b64 exec, exec, s[18:19]
	v_and_b32_e32 v2, 0xffff0000, v3
	v_and_b32_e32 v6, 0xffff0000, v7
	v_pk_mul_f32 v[2:3], v[2:3], v[6:7] op_sel_hi:[0,1]
	v_and_b32_e32 v3, 0x7f800000, v2
	v_cmp_ne_u32_e32 vcc, s66, v3
                                        ; implicit-def: $vgpr16
	s_and_saveexec_b64 s[18:19], vcc
	s_xor_b64 s[18:19], exec, s[18:19]
; %bb.1427:                             ;   in Loop: Header=BB12_1411 Depth=2
	v_bfe_u32 v3, v2, 16, 1
	v_add3_u32 v16, v2, v3, s67
                                        ; implicit-def: $vgpr2_vgpr3
; %bb.1428:                             ;   in Loop: Header=BB12_1411 Depth=2
	s_andn2_saveexec_b64 s[18:19], s[18:19]
; %bb.1429:                             ;   in Loop: Header=BB12_1411 Depth=2
	v_or_b32_e32 v3, 0x10000, v2
	v_cmp_eq_u32_sdwa vcc, v2, v1 src0_sel:WORD_0 src1_sel:DWORD
	s_nop 1
	v_cndmask_b32_e32 v16, v3, v2, vcc
; %bb.1430:                             ;   in Loop: Header=BB12_1411 Depth=2
	s_or_b64 exec, exec, s[18:19]
	v_lshlrev_b32_e32 v2, 16, v4
	v_lshlrev_b32_e32 v6, 16, v8
	v_pk_mul_f32 v[2:3], v[2:3], v[6:7] op_sel_hi:[0,1]
	v_and_b32_e32 v3, 0x7f800000, v2
	v_cmp_ne_u32_e32 vcc, s66, v3
                                        ; implicit-def: $vgpr17
	s_and_saveexec_b64 s[18:19], vcc
	s_xor_b64 s[18:19], exec, s[18:19]
; %bb.1431:                             ;   in Loop: Header=BB12_1411 Depth=2
	v_bfe_u32 v3, v2, 16, 1
	v_add3_u32 v17, v2, v3, s67
                                        ; implicit-def: $vgpr2_vgpr3
; %bb.1432:                             ;   in Loop: Header=BB12_1411 Depth=2
	s_andn2_saveexec_b64 s[18:19], s[18:19]
; %bb.1433:                             ;   in Loop: Header=BB12_1411 Depth=2
	v_or_b32_e32 v3, 0x10000, v2
	v_cmp_eq_u32_sdwa vcc, v2, v1 src0_sel:WORD_0 src1_sel:DWORD
	s_nop 1
	v_cndmask_b32_e32 v17, v3, v2, vcc
; %bb.1434:                             ;   in Loop: Header=BB12_1411 Depth=2
	s_or_b64 exec, exec, s[18:19]
	v_and_b32_e32 v2, 0xffff0000, v4
	v_and_b32_e32 v4, 0xffff0000, v8
	v_pk_mul_f32 v[2:3], v[2:3], v[4:5] op_sel_hi:[0,1]
	v_and_b32_e32 v3, 0x7f800000, v2
	v_cmp_ne_u32_e32 vcc, s66, v3
                                        ; implicit-def: $vgpr4
	s_and_saveexec_b64 s[18:19], vcc
	s_xor_b64 s[18:19], exec, s[18:19]
; %bb.1435:                             ;   in Loop: Header=BB12_1411 Depth=2
	v_bfe_u32 v3, v2, 16, 1
	v_add3_u32 v4, v2, v3, s67
                                        ; implicit-def: $vgpr2_vgpr3
; %bb.1436:                             ;   in Loop: Header=BB12_1411 Depth=2
	s_andn2_saveexec_b64 s[18:19], s[18:19]
; %bb.1437:                             ;   in Loop: Header=BB12_1411 Depth=2
	v_or_b32_e32 v3, 0x10000, v2
	v_cmp_eq_u32_sdwa vcc, v2, v1 src0_sel:WORD_0 src1_sel:DWORD
	s_nop 1
	v_cndmask_b32_e32 v4, v3, v2, vcc
; %bb.1438:                             ;   in Loop: Header=BB12_1411 Depth=2
	s_or_b64 exec, exec, s[18:19]
	v_mov_b32_e32 v3, v9
	v_lshlrev_b32_e32 v2, 16, v5
	v_lshlrev_b32_e32 v6, 16, v3
	v_pk_mul_f32 v[6:7], v[2:3], v[6:7] op_sel_hi:[0,1]
	v_and_b32_e32 v2, 0x7f800000, v6
	v_cmp_ne_u32_e32 vcc, s66, v2
                                        ; implicit-def: $vgpr8
	s_and_saveexec_b64 s[18:19], vcc
	s_xor_b64 s[18:19], exec, s[18:19]
; %bb.1439:                             ;   in Loop: Header=BB12_1411 Depth=2
	v_bfe_u32 v2, v6, 16, 1
	v_add3_u32 v8, v6, v2, s67
                                        ; implicit-def: $vgpr6_vgpr7
; %bb.1440:                             ;   in Loop: Header=BB12_1411 Depth=2
	s_andn2_saveexec_b64 s[18:19], s[18:19]
; %bb.1441:                             ;   in Loop: Header=BB12_1411 Depth=2
	v_or_b32_e32 v2, 0x10000, v6
	v_cmp_eq_u32_sdwa vcc, v6, v1 src0_sel:WORD_0 src1_sel:DWORD
	s_nop 1
	v_cndmask_b32_e32 v8, v2, v6, vcc
; %bb.1442:                             ;   in Loop: Header=BB12_1411 Depth=2
	s_or_b64 exec, exec, s[18:19]
	v_and_b32_e32 v2, 0xffff0000, v5
	v_and_b32_e32 v6, 0xffff0000, v3
	v_pk_mul_f32 v[2:3], v[2:3], v[6:7] op_sel_hi:[0,1]
	v_and_b32_e32 v3, 0x7f800000, v2
	v_cmp_ne_u32_e32 vcc, s66, v3
                                        ; implicit-def: $vgpr5
	s_and_saveexec_b64 s[18:19], vcc
	s_xor_b64 s[18:19], exec, s[18:19]
; %bb.1443:                             ;   in Loop: Header=BB12_1411 Depth=2
	v_bfe_u32 v3, v2, 16, 1
	v_add3_u32 v5, v2, v3, s67
                                        ; implicit-def: $vgpr2_vgpr3
; %bb.1444:                             ;   in Loop: Header=BB12_1411 Depth=2
	s_andn2_saveexec_b64 s[18:19], s[18:19]
; %bb.1445:                             ;   in Loop: Header=BB12_1411 Depth=2
	v_or_b32_e32 v3, 0x10000, v2
	v_cmp_eq_u32_sdwa vcc, v2, v1 src0_sel:WORD_0 src1_sel:DWORD
	s_nop 1
	v_cndmask_b32_e32 v5, v3, v2, vcc
; %bb.1446:                             ;   in Loop: Header=BB12_1411 Depth=2
	s_or_b64 exec, exec, s[18:19]
	v_lshrrev_b32_e32 v2, 16, v25
	v_lshrrev_b32_e32 v6, 16, v17
	v_and_or_b32 v3, v16, s69, v2
	v_lshrrev_b32_e32 v2, 16, v23
	v_and_or_b32 v4, v4, s69, v6
	;; [unrolled: 2-line block ×3, first 2 shown]
	v_and_or_b32 v5, v5, s69, v6
	scratch_store_dwordx4 off, v[2:5], s33 offset:224
	global_store_dwordx4 v[10:11], v[2:5], off nt
	v_lshl_add_u64 v[10:11], v[28:29], 0, v[10:11]
.LBB12_1447:                            ;   in Loop: Header=BB12_1411 Depth=2
	s_or_b64 exec, exec, s[16:17]
	v_sub_u32_e32 v22, v22, v53
	v_lshl_add_u64 v[12:13], v[12:13], 0, v[26:27]
	v_lshl_add_u64 v[14:15], v[14:15], 0, v[26:27]
	v_cmp_lt_i32_e64 s[56:57], 15, v22
	s_and_saveexec_b64 s[58:59], s[56:57]
	s_cbranch_execz .LBB12_1450
; %bb.1448:                             ;   in Loop: Header=BB12_1411 Depth=2
	s_add_i32 s16, s33, 0xe0
	v_mov_b32_e32 v2, s16
	s_mov_b64 s[62:63], 0
	s_mov_b64 s[60:61], -1
.LBB12_1449:                            ;   Parent Loop BB12_943 Depth=1
                                        ;     Parent Loop BB12_1411 Depth=2
                                        ; =>    This Inner Loop Header: Depth=3
	s_cmp_eq_u32 s62, 1
	s_cselect_b64 vcc, -1, 0
	v_cndmask_b32_e32 v9, v13, v15, vcc
	v_cndmask_b32_e32 v8, v12, v14, vcc
	global_load_dwordx4 v[4:7], v[8:9], off nt
	s_cmp_eq_u32 s62, 0
	v_lshl_add_u64 v[8:9], v[8:9], 0, s[34:35]
	s_cselect_b64 s[16:17], -1, 0
	s_and_b64 s[18:19], exec, s[60:61]
	s_mov_b64 s[62:63], 1
	s_mov_b64 s[60:61], 0
	v_cndmask_b32_e64 v13, v13, v9, s[16:17]
	v_cndmask_b32_e64 v12, v12, v8, s[16:17]
	v_cndmask_b32_e32 v15, v15, v9, vcc
	v_cndmask_b32_e32 v14, v14, v8, vcc
	s_mov_b64 vcc, s[18:19]
	s_waitcnt vmcnt(0)
	scratch_store_dwordx4 v2, v[4:7], off
	v_mov_b32_e32 v2, v50
	s_cbranch_vccnz .LBB12_1449
.LBB12_1450:                            ;   in Loop: Header=BB12_1411 Depth=2
	s_or_b64 exec, exec, s[58:59]
	scratch_load_dwordx4 v[2:5], off, s33 offset:208
	scratch_load_dwordx4 v[6:9], off, s33 offset:192
                                        ; implicit-def: $vgpr23
	s_waitcnt vmcnt(1)
	v_lshlrev_b32_e32 v16, 16, v2
	s_waitcnt vmcnt(0)
	v_lshlrev_b32_e32 v24, 16, v6
	v_pk_mul_f32 v[16:17], v[16:17], v[24:25] op_sel_hi:[0,1]
	v_and_b32_e32 v17, 0x7f800000, v16
	v_cmp_ne_u32_e32 vcc, s66, v17
	s_and_saveexec_b64 s[16:17], vcc
	s_xor_b64 s[16:17], exec, s[16:17]
; %bb.1451:                             ;   in Loop: Header=BB12_1411 Depth=2
	v_bfe_u32 v17, v16, 16, 1
	v_add3_u32 v23, v16, v17, s67
                                        ; implicit-def: $vgpr16_vgpr17
; %bb.1452:                             ;   in Loop: Header=BB12_1411 Depth=2
	s_andn2_saveexec_b64 s[16:17], s[16:17]
; %bb.1453:                             ;   in Loop: Header=BB12_1411 Depth=2
	v_or_b32_e32 v17, 0x10000, v16
	v_cmp_eq_u32_sdwa vcc, v16, v1 src0_sel:WORD_0 src1_sel:DWORD
	s_nop 1
	v_cndmask_b32_e32 v23, v17, v16, vcc
; %bb.1454:                             ;   in Loop: Header=BB12_1411 Depth=2
	s_or_b64 exec, exec, s[16:17]
	v_and_b32_e32 v2, 0xffff0000, v2
	v_and_b32_e32 v6, 0xffff0000, v6
	v_pk_mul_f32 v[16:17], v[2:3], v[6:7] op_sel_hi:[0,1]
	v_and_b32_e32 v2, 0x7f800000, v16
	v_cmp_ne_u32_e32 vcc, s66, v2
                                        ; implicit-def: $vgpr24
	s_and_saveexec_b64 s[16:17], vcc
	s_xor_b64 s[16:17], exec, s[16:17]
; %bb.1455:                             ;   in Loop: Header=BB12_1411 Depth=2
	v_bfe_u32 v2, v16, 16, 1
	v_add3_u32 v24, v16, v2, s67
                                        ; implicit-def: $vgpr16_vgpr17
; %bb.1456:                             ;   in Loop: Header=BB12_1411 Depth=2
	s_andn2_saveexec_b64 s[16:17], s[16:17]
; %bb.1457:                             ;   in Loop: Header=BB12_1411 Depth=2
	v_or_b32_e32 v2, 0x10000, v16
	v_cmp_eq_u32_sdwa vcc, v16, v1 src0_sel:WORD_0 src1_sel:DWORD
	s_nop 1
	v_cndmask_b32_e32 v24, v2, v16, vcc
; %bb.1458:                             ;   in Loop: Header=BB12_1411 Depth=2
	s_or_b64 exec, exec, s[16:17]
	v_lshlrev_b32_e32 v2, 16, v3
	v_lshlrev_b32_e32 v6, 16, v7
	v_pk_mul_f32 v[16:17], v[2:3], v[6:7] op_sel_hi:[0,1]
	v_and_b32_e32 v2, 0x7f800000, v16
	v_cmp_ne_u32_e32 vcc, s66, v2
                                        ; implicit-def: $vgpr25
	s_and_saveexec_b64 s[16:17], vcc
	s_xor_b64 s[16:17], exec, s[16:17]
; %bb.1459:                             ;   in Loop: Header=BB12_1411 Depth=2
	v_bfe_u32 v2, v16, 16, 1
	v_add3_u32 v25, v16, v2, s67
                                        ; implicit-def: $vgpr16_vgpr17
; %bb.1460:                             ;   in Loop: Header=BB12_1411 Depth=2
	s_andn2_saveexec_b64 s[16:17], s[16:17]
; %bb.1461:                             ;   in Loop: Header=BB12_1411 Depth=2
	v_or_b32_e32 v2, 0x10000, v16
	v_cmp_eq_u32_sdwa vcc, v16, v1 src0_sel:WORD_0 src1_sel:DWORD
	s_nop 1
	v_cndmask_b32_e32 v25, v2, v16, vcc
; %bb.1462:                             ;   in Loop: Header=BB12_1411 Depth=2
	s_or_b64 exec, exec, s[16:17]
	v_and_b32_e32 v2, 0xffff0000, v3
	v_and_b32_e32 v6, 0xffff0000, v7
	v_pk_mul_f32 v[2:3], v[2:3], v[6:7] op_sel_hi:[0,1]
	v_and_b32_e32 v3, 0x7f800000, v2
	v_cmp_ne_u32_e32 vcc, s66, v3
                                        ; implicit-def: $vgpr16
	s_and_saveexec_b64 s[16:17], vcc
	s_xor_b64 s[16:17], exec, s[16:17]
; %bb.1463:                             ;   in Loop: Header=BB12_1411 Depth=2
	v_bfe_u32 v3, v2, 16, 1
	v_add3_u32 v16, v2, v3, s67
                                        ; implicit-def: $vgpr2_vgpr3
; %bb.1464:                             ;   in Loop: Header=BB12_1411 Depth=2
	s_andn2_saveexec_b64 s[16:17], s[16:17]
; %bb.1465:                             ;   in Loop: Header=BB12_1411 Depth=2
	v_or_b32_e32 v3, 0x10000, v2
	v_cmp_eq_u32_sdwa vcc, v2, v1 src0_sel:WORD_0 src1_sel:DWORD
	s_nop 1
	v_cndmask_b32_e32 v16, v3, v2, vcc
; %bb.1466:                             ;   in Loop: Header=BB12_1411 Depth=2
	s_or_b64 exec, exec, s[16:17]
	v_lshlrev_b32_e32 v2, 16, v4
	v_lshlrev_b32_e32 v6, 16, v8
	v_pk_mul_f32 v[2:3], v[2:3], v[6:7] op_sel_hi:[0,1]
	v_and_b32_e32 v3, 0x7f800000, v2
	v_cmp_ne_u32_e32 vcc, s66, v3
                                        ; implicit-def: $vgpr17
	s_and_saveexec_b64 s[16:17], vcc
	s_xor_b64 s[16:17], exec, s[16:17]
; %bb.1467:                             ;   in Loop: Header=BB12_1411 Depth=2
	v_bfe_u32 v3, v2, 16, 1
	v_add3_u32 v17, v2, v3, s67
                                        ; implicit-def: $vgpr2_vgpr3
; %bb.1468:                             ;   in Loop: Header=BB12_1411 Depth=2
	s_andn2_saveexec_b64 s[16:17], s[16:17]
; %bb.1469:                             ;   in Loop: Header=BB12_1411 Depth=2
	v_or_b32_e32 v3, 0x10000, v2
	v_cmp_eq_u32_sdwa vcc, v2, v1 src0_sel:WORD_0 src1_sel:DWORD
	s_nop 1
	v_cndmask_b32_e32 v17, v3, v2, vcc
; %bb.1470:                             ;   in Loop: Header=BB12_1411 Depth=2
	s_or_b64 exec, exec, s[16:17]
	v_and_b32_e32 v2, 0xffff0000, v4
	v_and_b32_e32 v4, 0xffff0000, v8
	v_pk_mul_f32 v[2:3], v[2:3], v[4:5] op_sel_hi:[0,1]
	v_and_b32_e32 v3, 0x7f800000, v2
	v_cmp_ne_u32_e32 vcc, s66, v3
                                        ; implicit-def: $vgpr4
	s_and_saveexec_b64 s[16:17], vcc
	s_xor_b64 s[16:17], exec, s[16:17]
; %bb.1471:                             ;   in Loop: Header=BB12_1411 Depth=2
	v_bfe_u32 v3, v2, 16, 1
	v_add3_u32 v4, v2, v3, s67
                                        ; implicit-def: $vgpr2_vgpr3
; %bb.1472:                             ;   in Loop: Header=BB12_1411 Depth=2
	s_andn2_saveexec_b64 s[16:17], s[16:17]
; %bb.1473:                             ;   in Loop: Header=BB12_1411 Depth=2
	v_or_b32_e32 v3, 0x10000, v2
	v_cmp_eq_u32_sdwa vcc, v2, v1 src0_sel:WORD_0 src1_sel:DWORD
	s_nop 1
	v_cndmask_b32_e32 v4, v3, v2, vcc
; %bb.1474:                             ;   in Loop: Header=BB12_1411 Depth=2
	s_or_b64 exec, exec, s[16:17]
	v_mov_b32_e32 v3, v9
	v_lshlrev_b32_e32 v2, 16, v5
	v_lshlrev_b32_e32 v6, 16, v3
	v_pk_mul_f32 v[6:7], v[2:3], v[6:7] op_sel_hi:[0,1]
	v_and_b32_e32 v2, 0x7f800000, v6
	v_cmp_ne_u32_e32 vcc, s66, v2
                                        ; implicit-def: $vgpr8
	s_and_saveexec_b64 s[16:17], vcc
	s_xor_b64 s[16:17], exec, s[16:17]
; %bb.1475:                             ;   in Loop: Header=BB12_1411 Depth=2
	v_bfe_u32 v2, v6, 16, 1
	v_add3_u32 v8, v6, v2, s67
                                        ; implicit-def: $vgpr6_vgpr7
; %bb.1476:                             ;   in Loop: Header=BB12_1411 Depth=2
	s_andn2_saveexec_b64 s[16:17], s[16:17]
; %bb.1477:                             ;   in Loop: Header=BB12_1411 Depth=2
	v_or_b32_e32 v2, 0x10000, v6
	v_cmp_eq_u32_sdwa vcc, v6, v1 src0_sel:WORD_0 src1_sel:DWORD
	s_nop 1
	v_cndmask_b32_e32 v8, v2, v6, vcc
; %bb.1478:                             ;   in Loop: Header=BB12_1411 Depth=2
	s_or_b64 exec, exec, s[16:17]
	v_and_b32_e32 v2, 0xffff0000, v5
	v_and_b32_e32 v6, 0xffff0000, v3
	v_pk_mul_f32 v[2:3], v[2:3], v[6:7] op_sel_hi:[0,1]
	v_and_b32_e32 v3, 0x7f800000, v2
	v_cmp_ne_u32_e32 vcc, s66, v3
                                        ; implicit-def: $vgpr5
	s_and_saveexec_b64 s[16:17], vcc
	s_xor_b64 s[16:17], exec, s[16:17]
; %bb.1479:                             ;   in Loop: Header=BB12_1411 Depth=2
	v_bfe_u32 v3, v2, 16, 1
	v_add3_u32 v5, v2, v3, s67
                                        ; implicit-def: $vgpr2_vgpr3
; %bb.1480:                             ;   in Loop: Header=BB12_1411 Depth=2
	s_andn2_saveexec_b64 s[16:17], s[16:17]
; %bb.1481:                             ;   in Loop: Header=BB12_1411 Depth=2
	v_or_b32_e32 v3, 0x10000, v2
	v_cmp_eq_u32_sdwa vcc, v2, v1 src0_sel:WORD_0 src1_sel:DWORD
	s_nop 1
	v_cndmask_b32_e32 v5, v3, v2, vcc
; %bb.1482:                             ;   in Loop: Header=BB12_1411 Depth=2
	s_or_b64 exec, exec, s[16:17]
	v_accvgpr_read_b32 v3, a1
	v_accvgpr_read_b32 v2, a0
	v_sub_u32_e32 v21, v21, v2
	v_lshrrev_b32_e32 v2, 16, v25
	v_lshrrev_b32_e32 v6, 16, v17
	v_and_or_b32 v3, v16, s69, v2
	v_lshrrev_b32_e32 v2, 16, v23
	v_and_or_b32 v4, v4, s69, v6
	;; [unrolled: 2-line block ×3, first 2 shown]
	v_and_or_b32 v5, v5, s69, v6
	scratch_store_dwordx4 off, v[2:5], s33 offset:192
	global_store_dwordx4 v[10:11], v[2:5], off nt
	v_lshl_add_u64 v[10:11], v[10:11], 0, s[34:35]
	s_and_saveexec_b64 s[16:17], s[56:57]
	s_cbranch_execz .LBB12_1410
; %bb.1483:                             ;   in Loop: Header=BB12_1411 Depth=2
	v_accvgpr_read_b32 v3, a1
	v_accvgpr_read_b32 v2, a0
	v_lshl_add_u64 v[12:13], v[12:13], 0, v[26:27]
	v_lshl_add_u64 v[14:15], v[14:15], 0, v[26:27]
	;; [unrolled: 1-line block ×3, first 2 shown]
	v_sub_u32_e32 v22, v22, v53
	v_sub_u32_e32 v21, v21, v2
	s_branch .LBB12_1410
.LBB12_1484:                            ;   in Loop: Header=BB12_943 Depth=1
	s_or_b64 exec, exec, s[52:53]
	s_and_b64 s[18:19], s[54:55], exec
.LBB12_1485:                            ;   in Loop: Header=BB12_943 Depth=1
	s_or_b64 exec, exec, s[50:51]
	s_and_saveexec_b64 s[16:17], s[18:19]
	s_cbranch_execz .LBB12_1519
; %bb.1486:                             ;   in Loop: Header=BB12_943 Depth=1
	scratch_load_dwordx4 v[2:5], off, s33 offset:240
	scratch_load_dwordx4 v[6:9], off, s33 offset:224
	s_waitcnt vmcnt(1)
	v_lshlrev_b32_e32 v12, 16, v2
	s_waitcnt vmcnt(0)
	v_lshlrev_b32_e32 v14, 16, v6
	v_pk_mul_f32 v[12:13], v[12:13], v[14:15] op_sel_hi:[0,1]
	v_and_b32_e32 v13, 0x7f800000, v12
	v_cmp_ne_u32_e32 vcc, s66, v13
                                        ; implicit-def: $vgpr14
	s_and_saveexec_b64 s[18:19], vcc
	s_xor_b64 s[18:19], exec, s[18:19]
; %bb.1487:                             ;   in Loop: Header=BB12_943 Depth=1
	v_bfe_u32 v13, v12, 16, 1
	v_add3_u32 v14, v12, v13, s67
                                        ; implicit-def: $vgpr12_vgpr13
; %bb.1488:                             ;   in Loop: Header=BB12_943 Depth=1
	s_andn2_saveexec_b64 s[18:19], s[18:19]
; %bb.1489:                             ;   in Loop: Header=BB12_943 Depth=1
	v_or_b32_e32 v13, 0x10000, v12
	v_cmp_eq_u32_sdwa vcc, v12, v1 src0_sel:WORD_0 src1_sel:DWORD
	s_nop 1
	v_cndmask_b32_e32 v14, v13, v12, vcc
; %bb.1490:                             ;   in Loop: Header=BB12_943 Depth=1
	s_or_b64 exec, exec, s[18:19]
	v_and_b32_e32 v2, 0xffff0000, v2
	v_and_b32_e32 v6, 0xffff0000, v6
	v_pk_mul_f32 v[12:13], v[2:3], v[6:7] op_sel_hi:[0,1]
	v_and_b32_e32 v2, 0x7f800000, v12
	v_cmp_ne_u32_e32 vcc, s66, v2
                                        ; implicit-def: $vgpr15
	s_and_saveexec_b64 s[18:19], vcc
	s_xor_b64 s[18:19], exec, s[18:19]
; %bb.1491:                             ;   in Loop: Header=BB12_943 Depth=1
	v_bfe_u32 v2, v12, 16, 1
	v_add3_u32 v15, v12, v2, s67
                                        ; implicit-def: $vgpr12_vgpr13
; %bb.1492:                             ;   in Loop: Header=BB12_943 Depth=1
	s_andn2_saveexec_b64 s[18:19], s[18:19]
; %bb.1493:                             ;   in Loop: Header=BB12_943 Depth=1
	v_or_b32_e32 v2, 0x10000, v12
	v_cmp_eq_u32_sdwa vcc, v12, v1 src0_sel:WORD_0 src1_sel:DWORD
	s_nop 1
	v_cndmask_b32_e32 v15, v2, v12, vcc
; %bb.1494:                             ;   in Loop: Header=BB12_943 Depth=1
	s_or_b64 exec, exec, s[18:19]
	v_lshlrev_b32_e32 v2, 16, v3
	v_lshlrev_b32_e32 v6, 16, v7
	v_pk_mul_f32 v[12:13], v[2:3], v[6:7] op_sel_hi:[0,1]
	v_and_b32_e32 v2, 0x7f800000, v12
	v_cmp_ne_u32_e32 vcc, s66, v2
                                        ; implicit-def: $vgpr16
	s_and_saveexec_b64 s[18:19], vcc
	s_xor_b64 s[18:19], exec, s[18:19]
; %bb.1495:                             ;   in Loop: Header=BB12_943 Depth=1
	v_bfe_u32 v2, v12, 16, 1
	v_add3_u32 v16, v12, v2, s67
                                        ; implicit-def: $vgpr12_vgpr13
; %bb.1496:                             ;   in Loop: Header=BB12_943 Depth=1
	s_andn2_saveexec_b64 s[18:19], s[18:19]
; %bb.1497:                             ;   in Loop: Header=BB12_943 Depth=1
	v_or_b32_e32 v2, 0x10000, v12
	v_cmp_eq_u32_sdwa vcc, v12, v1 src0_sel:WORD_0 src1_sel:DWORD
	s_nop 1
	v_cndmask_b32_e32 v16, v2, v12, vcc
; %bb.1498:                             ;   in Loop: Header=BB12_943 Depth=1
	s_or_b64 exec, exec, s[18:19]
	v_and_b32_e32 v2, 0xffff0000, v3
	v_and_b32_e32 v6, 0xffff0000, v7
	v_pk_mul_f32 v[2:3], v[2:3], v[6:7] op_sel_hi:[0,1]
	v_and_b32_e32 v3, 0x7f800000, v2
	v_cmp_ne_u32_e32 vcc, s66, v3
                                        ; implicit-def: $vgpr12
	s_and_saveexec_b64 s[18:19], vcc
	s_xor_b64 s[18:19], exec, s[18:19]
; %bb.1499:                             ;   in Loop: Header=BB12_943 Depth=1
	v_bfe_u32 v3, v2, 16, 1
	v_add3_u32 v12, v2, v3, s67
                                        ; implicit-def: $vgpr2_vgpr3
; %bb.1500:                             ;   in Loop: Header=BB12_943 Depth=1
	s_andn2_saveexec_b64 s[18:19], s[18:19]
; %bb.1501:                             ;   in Loop: Header=BB12_943 Depth=1
	v_or_b32_e32 v3, 0x10000, v2
	v_cmp_eq_u32_sdwa vcc, v2, v1 src0_sel:WORD_0 src1_sel:DWORD
	s_nop 1
	v_cndmask_b32_e32 v12, v3, v2, vcc
; %bb.1502:                             ;   in Loop: Header=BB12_943 Depth=1
	s_or_b64 exec, exec, s[18:19]
	v_lshlrev_b32_e32 v2, 16, v4
	v_lshlrev_b32_e32 v6, 16, v8
	v_pk_mul_f32 v[2:3], v[2:3], v[6:7] op_sel_hi:[0,1]
	v_and_b32_e32 v3, 0x7f800000, v2
	v_cmp_ne_u32_e32 vcc, s66, v3
                                        ; implicit-def: $vgpr13
	s_and_saveexec_b64 s[18:19], vcc
	s_xor_b64 s[18:19], exec, s[18:19]
; %bb.1503:                             ;   in Loop: Header=BB12_943 Depth=1
	v_bfe_u32 v3, v2, 16, 1
	v_add3_u32 v13, v2, v3, s67
                                        ; implicit-def: $vgpr2_vgpr3
; %bb.1504:                             ;   in Loop: Header=BB12_943 Depth=1
	s_andn2_saveexec_b64 s[18:19], s[18:19]
; %bb.1505:                             ;   in Loop: Header=BB12_943 Depth=1
	v_or_b32_e32 v3, 0x10000, v2
	v_cmp_eq_u32_sdwa vcc, v2, v1 src0_sel:WORD_0 src1_sel:DWORD
	s_nop 1
	v_cndmask_b32_e32 v13, v3, v2, vcc
; %bb.1506:                             ;   in Loop: Header=BB12_943 Depth=1
	s_or_b64 exec, exec, s[18:19]
	v_and_b32_e32 v2, 0xffff0000, v4
	v_and_b32_e32 v4, 0xffff0000, v8
	v_pk_mul_f32 v[2:3], v[2:3], v[4:5] op_sel_hi:[0,1]
	v_and_b32_e32 v3, 0x7f800000, v2
	v_cmp_ne_u32_e32 vcc, s66, v3
                                        ; implicit-def: $vgpr4
	s_and_saveexec_b64 s[18:19], vcc
	s_xor_b64 s[18:19], exec, s[18:19]
; %bb.1507:                             ;   in Loop: Header=BB12_943 Depth=1
	v_bfe_u32 v3, v2, 16, 1
	v_add3_u32 v4, v2, v3, s67
                                        ; implicit-def: $vgpr2_vgpr3
; %bb.1508:                             ;   in Loop: Header=BB12_943 Depth=1
	s_andn2_saveexec_b64 s[18:19], s[18:19]
; %bb.1509:                             ;   in Loop: Header=BB12_943 Depth=1
	v_or_b32_e32 v3, 0x10000, v2
	v_cmp_eq_u32_sdwa vcc, v2, v1 src0_sel:WORD_0 src1_sel:DWORD
	s_nop 1
	v_cndmask_b32_e32 v4, v3, v2, vcc
; %bb.1510:                             ;   in Loop: Header=BB12_943 Depth=1
	s_or_b64 exec, exec, s[18:19]
	v_mov_b32_e32 v3, v9
	v_lshlrev_b32_e32 v2, 16, v5
	v_lshlrev_b32_e32 v6, 16, v3
	v_pk_mul_f32 v[6:7], v[2:3], v[6:7] op_sel_hi:[0,1]
	v_and_b32_e32 v2, 0x7f800000, v6
	v_cmp_ne_u32_e32 vcc, s66, v2
                                        ; implicit-def: $vgpr8
	s_and_saveexec_b64 s[18:19], vcc
	s_xor_b64 s[18:19], exec, s[18:19]
; %bb.1511:                             ;   in Loop: Header=BB12_943 Depth=1
	v_bfe_u32 v2, v6, 16, 1
	v_add3_u32 v8, v6, v2, s67
                                        ; implicit-def: $vgpr6_vgpr7
; %bb.1512:                             ;   in Loop: Header=BB12_943 Depth=1
	s_andn2_saveexec_b64 s[18:19], s[18:19]
; %bb.1513:                             ;   in Loop: Header=BB12_943 Depth=1
	v_or_b32_e32 v2, 0x10000, v6
	v_cmp_eq_u32_sdwa vcc, v6, v1 src0_sel:WORD_0 src1_sel:DWORD
	s_nop 1
	v_cndmask_b32_e32 v8, v2, v6, vcc
; %bb.1514:                             ;   in Loop: Header=BB12_943 Depth=1
	s_or_b64 exec, exec, s[18:19]
	v_and_b32_e32 v2, 0xffff0000, v5
	v_and_b32_e32 v6, 0xffff0000, v3
	v_pk_mul_f32 v[2:3], v[2:3], v[6:7] op_sel_hi:[0,1]
	v_and_b32_e32 v3, 0x7f800000, v2
	v_cmp_ne_u32_e32 vcc, s66, v3
                                        ; implicit-def: $vgpr5
	s_and_saveexec_b64 s[18:19], vcc
	s_xor_b64 s[18:19], exec, s[18:19]
; %bb.1515:                             ;   in Loop: Header=BB12_943 Depth=1
	v_bfe_u32 v3, v2, 16, 1
	v_add3_u32 v5, v2, v3, s67
                                        ; implicit-def: $vgpr2_vgpr3
; %bb.1516:                             ;   in Loop: Header=BB12_943 Depth=1
	s_andn2_saveexec_b64 s[18:19], s[18:19]
; %bb.1517:                             ;   in Loop: Header=BB12_943 Depth=1
	v_or_b32_e32 v3, 0x10000, v2
	v_cmp_eq_u32_sdwa vcc, v2, v1 src0_sel:WORD_0 src1_sel:DWORD
	s_nop 1
	v_cndmask_b32_e32 v5, v3, v2, vcc
; %bb.1518:                             ;   in Loop: Header=BB12_943 Depth=1
	s_or_b64 exec, exec, s[18:19]
	v_lshrrev_b32_e32 v2, 16, v16
	v_lshrrev_b32_e32 v6, 16, v13
	v_and_or_b32 v3, v12, s69, v2
	v_lshrrev_b32_e32 v2, 16, v14
	v_and_or_b32 v4, v4, s69, v6
	;; [unrolled: 2-line block ×3, first 2 shown]
	v_and_or_b32 v5, v5, s69, v6
	global_store_dwordx4 v[10:11], v[2:5], off nt
.LBB12_1519:                            ;   in Loop: Header=BB12_943 Depth=1
	s_or_b64 exec, exec, s[16:17]
	s_nop 0
	v_and_b32_e32 v3, 14, v47
	v_cndmask_b32_e64 v47, v20, v3, s[14:15]
	v_cmp_ne_u32_e32 vcc, 0, v47
	s_mov_b64 s[16:17], 0
	v_mov_b32_e32 v6, 0
                                        ; implicit-def: $vgpr4
                                        ; implicit-def: $vgpr2
                                        ; implicit-def: $vgpr8_vgpr9
                                        ; kill: killed $vgpr8_vgpr9
	s_and_saveexec_b64 s[18:19], vcc
	s_cbranch_execz .LBB12_1521
; %bb.1520:                             ;   in Loop: Header=BB12_943 Depth=1
	v_sub_u32_e32 v2, v20, v3
	v_cndmask_b32_e64 v2, 0, v2, s[14:15]
	v_add3_u32 v6, v19, v18, v2
	v_accvgpr_read_b32 v3, a1
	v_cmp_lt_i32_e32 vcc, 0, v21
	v_accvgpr_read_b32 v2, a0
	s_trap 2
	v_cndmask_b32_e32 v2, 0, v2, vcc
	v_sub_u32_e32 v2, v2, v21
	v_lshl_add_u32 v0, v2, 6, v0
	ds_read_b64 v[4:5], v0
	v_ashrrev_i32_e32 v2, 31, v0
	v_lshrrev_b32_e32 v2, 26, v2
	v_add_u32_e32 v3, v0, v2
	v_ashrrev_i32_e32 v2, 6, v3
	v_and_b32_e32 v3, 0xffffffc0, v3
	s_mov_b64 s[16:17], exec
	s_waitcnt lgkmcnt(0)
	scratch_store_dwordx2 off, v[4:5], s33 offset:296 ; 8-byte Folded Spill
	v_sub_u32_e32 v4, v0, v3
.LBB12_1521:                            ;   in Loop: Header=BB12_943 Depth=1
	s_or_b64 exec, exec, s[18:19]
	s_and_b64 s[14:15], s[16:17], exec
.LBB12_1522:                            ;   in Loop: Header=BB12_943 Depth=1
	s_or_b64 exec, exec, s[48:49]
	s_and_saveexec_b64 s[18:19], s[14:15]
	s_cbranch_execz .LBB12_1751
.LBB12_1523:                            ;   in Loop: Header=BB12_943 Depth=1
	v_lshlrev_b32_e32 v0, 11, v2
	v_lshlrev_b32_e32 v3, 1, v4
	v_accvgpr_write_b32 a2, v6
	v_add3_u32 v6, v6, v3, v0
	v_ashrrev_i32_e32 v0, 31, v47
	v_lshrrev_b32_e32 v0, 21, v0
	v_add_u32_e32 v0, v47, v0
	v_ashrrev_i32_e32 v0, 11, v0
	v_sub_u32_e32 v8, v0, v2
	scratch_load_dwordx2 v[2:3], off, s33 offset:296 ; 8-byte Folded Reload
	v_ashrrev_i32_e32 v7, 31, v6
	s_waitcnt vmcnt(0)
	v_accvgpr_write_b32 a57, v30
	v_accvgpr_write_b32 a3, v4
	;; [unrolled: 1-line block ×3, first 2 shown]
	v_cmp_lt_i32_e32 vcc, 0, v8
	s_mov_b64 s[16:17], 0
                                        ; implicit-def: $vgpr58
                                        ; implicit-def: $vgpr46
                                        ; implicit-def: $vgpr41
                                        ; implicit-def: $vgpr52
                                        ; implicit-def: $vgpr39
                                        ; implicit-def: $vgpr38
                                        ; implicit-def: $vgpr37
                                        ; implicit-def: $vgpr36
                                        ; implicit-def: $vgpr34
                                        ; implicit-def: $vgpr31
                                        ; implicit-def: $vgpr28
                                        ; implicit-def: $vgpr25
                                        ; implicit-def: $vgpr21
                                        ; implicit-def: $vgpr18
                                        ; implicit-def: $vgpr15
                                        ; implicit-def: $vgpr13
                                        ; implicit-def: $vgpr35
                                        ; implicit-def: $vgpr33
                                        ; implicit-def: $vgpr32
                                        ; implicit-def: $vgpr30
                                        ; implicit-def: $vgpr29
                                        ; implicit-def: $agpr40
                                        ; implicit-def: $agpr31
                                        ; implicit-def: $agpr23
                                        ; implicit-def: $agpr22
                                        ; implicit-def: $agpr21
                                        ; implicit-def: $agpr20
                                        ; implicit-def: $agpr14
                                        ; implicit-def: $agpr12
                                        ; implicit-def: $agpr11
                                        ; implicit-def: $agpr10
                                        ; implicit-def: $agpr5
	s_waitcnt vmcnt(0)
	v_lshl_add_u64 v[2:3], v[2:3], 0, v[6:7]
	s_and_saveexec_b64 s[14:15], vcc
	s_cbranch_execz .LBB12_1659
; %bb.1524:                             ;   in Loop: Header=BB12_943 Depth=1
	s_trap 2
	ds_read_b128 v[10:13], v0
	v_accvgpr_write_b32 a54, v56
	v_accvgpr_write_b32 a58, v47
	;; [unrolled: 1-line block ×4, first 2 shown]
	s_mov_b64 s[50:51], 0
	s_waitcnt lgkmcnt(0)
	v_lshl_add_u64 v[4:5], v[10:11], 0, v[6:7]
	v_lshl_add_u64 v[6:7], v[12:13], 0, v[6:7]
                                        ; implicit-def: $sgpr48_sgpr49
                                        ; implicit-def: $vgpr58
                                        ; implicit-def: $vgpr46
                                        ; implicit-def: $vgpr41
                                        ; implicit-def: $vgpr52
                                        ; implicit-def: $vgpr39
                                        ; implicit-def: $vgpr38
                                        ; implicit-def: $vgpr37
                                        ; implicit-def: $vgpr36
                                        ; implicit-def: $vgpr34
                                        ; implicit-def: $vgpr31
                                        ; implicit-def: $vgpr28
                                        ; implicit-def: $vgpr25
                                        ; implicit-def: $vgpr21
                                        ; implicit-def: $vgpr18
                                        ; implicit-def: $vgpr15
                                        ; implicit-def: $vgpr13
                                        ; implicit-def: $vgpr35
                                        ; implicit-def: $vgpr33
                                        ; implicit-def: $vgpr32
                                        ; implicit-def: $vgpr30
                                        ; implicit-def: $vgpr29
                                        ; implicit-def: $agpr40
                                        ; implicit-def: $agpr31
                                        ; implicit-def: $agpr23
                                        ; implicit-def: $agpr22
                                        ; implicit-def: $agpr21
                                        ; implicit-def: $agpr20
                                        ; implicit-def: $agpr14
                                        ; implicit-def: $agpr12
                                        ; implicit-def: $agpr11
                                        ; implicit-def: $agpr10
                                        ; implicit-def: $agpr5
	s_branch .LBB12_1526
.LBB12_1525:                            ;   in Loop: Header=BB12_1526 Depth=2
	s_or_b64 exec, exec, s[52:53]
	flat_store_short_d16_hi v[2:3], v24 nt
	flat_store_short_d16_hi v[2:3], v22 offset:128 nt
	flat_store_short_d16_hi v[2:3], v19 offset:256 nt
	;; [unrolled: 1-line block ×15, first 2 shown]
	v_accvgpr_read_b32 v10, a44
	v_accvgpr_read_b32 v11, a45
	v_lshl_add_u64 v[8:9], v[4:5], 0, v[10:11]
	v_cndmask_b32_e64 v5, v5, v9, s[50:51]
	v_cndmask_b32_e64 v4, v4, v8, s[50:51]
	v_accvgpr_read_b32 v9, a1
	v_accvgpr_read_b32 v16, a46
	v_mov_b32_e32 v0, 0x800
	v_accvgpr_read_b32 v8, a0
	v_cndmask_b32_e64 v16, v0, v16, s[50:51]
	v_cndmask_b32_e64 v0, 0, v8, s[50:51]
	v_sub_u32_e32 v8, v26, v0
	v_cmp_gt_i32_e32 vcc, 1, v8
	v_accvgpr_read_b32 v17, a47
	s_or_b64 s[16:17], vcc, s[16:17]
	v_lshl_add_u64 v[10:11], v[6:7], 0, v[10:11]
	v_cndmask_b32_e64 v17, 0, v17, s[50:51]
	s_andn2_b64 vcc, s[48:49], exec
	s_and_b64 s[48:49], s[50:51], exec
	v_lshl_add_u64 v[2:3], v[2:3], 0, v[16:17]
	v_cndmask_b32_e64 v7, v7, v11, s[50:51]
	v_cndmask_b32_e64 v6, v6, v10, s[50:51]
	s_or_b64 s[48:49], vcc, s[48:49]
	s_andn2_b64 exec, exec, s[16:17]
	s_cbranch_execz .LBB12_1658
.LBB12_1526:                            ;   Parent Loop BB12_943 Depth=1
                                        ; =>  This Inner Loop Header: Depth=2
	flat_load_ushort v9, v[4:5] nt
	flat_load_ushort v22, v[4:5] offset:128 nt
	flat_load_ushort v19, v[4:5] offset:256 nt
	;; [unrolled: 1-line block ×15, first 2 shown]
	flat_load_ushort v24, v[6:7] nt
	flat_load_ushort v23, v[6:7] offset:128 nt
	flat_load_ushort v20, v[6:7] offset:256 nt
	flat_load_ushort v17, v[6:7] offset:384 nt
	flat_load_ushort v14, v[6:7] offset:512 nt
	flat_load_ushort v10, v[6:7] offset:640 nt
	flat_load_ushort v0, v[6:7] offset:768 nt
	flat_load_ushort v61, v[6:7] offset:896 nt
	flat_load_ushort v59, v[6:7] offset:1024 nt
	flat_load_ushort v56, v[6:7] offset:1152 nt
	flat_load_ushort v45, v[6:7] offset:1280 nt
	flat_load_ushort v43, v[6:7] offset:1408 nt
	flat_load_ushort v40, v[6:7] offset:1536 nt
	flat_load_ushort v54, v[6:7] offset:1664 nt
	flat_load_ushort v51, v[6:7] offset:1792 nt
	flat_load_ushort v49, v[6:7] offset:1920 nt
	s_and_saveexec_b64 s[52:53], s[50:51]
	s_cbranch_execz .LBB12_1592
; %bb.1527:                             ;   in Loop: Header=BB12_1526 Depth=2
	v_lshlrev_b32_e32 v26, 16, v58
	v_lshlrev_b32_e32 v58, 16, v35
	v_mul_f32_e32 v58, v26, v58
	v_and_b32_e32 v26, 0x7f800000, v58
	v_cmp_ne_u32_e32 vcc, s66, v26
                                        ; implicit-def: $vgpr26
	s_and_saveexec_b64 s[50:51], vcc
	s_xor_b64 vcc, exec, s[50:51]
; %bb.1528:                             ;   in Loop: Header=BB12_1526 Depth=2
	v_bfe_u32 v26, v58, 16, 1
	v_add3_u32 v26, v58, v26, s67
                                        ; implicit-def: $vgpr58
; %bb.1529:                             ;   in Loop: Header=BB12_1526 Depth=2
	s_andn2_saveexec_b64 s[50:51], vcc
; %bb.1530:                             ;   in Loop: Header=BB12_1526 Depth=2
	v_or_b32_e32 v26, 0x10000, v58
	v_cmp_eq_u32_sdwa vcc, v58, v1 src0_sel:WORD_0 src1_sel:DWORD
	s_nop 1
	v_cndmask_b32_e32 v26, v26, v58, vcc
; %bb.1531:                             ;   in Loop: Header=BB12_1526 Depth=2
	s_or_b64 exec, exec, s[50:51]
	v_lshlrev_b32_e32 v46, 16, v46
	v_lshlrev_b32_e32 v58, 16, v33
	v_mul_f32_e32 v58, v46, v58
	v_and_b32_e32 v46, 0x7f800000, v58
	v_cmp_ne_u32_e32 vcc, s66, v46
                                        ; implicit-def: $vgpr46
	s_and_saveexec_b64 s[50:51], vcc
	s_xor_b64 vcc, exec, s[50:51]
; %bb.1532:                             ;   in Loop: Header=BB12_1526 Depth=2
	v_bfe_u32 v46, v58, 16, 1
	v_add3_u32 v46, v58, v46, s67
                                        ; implicit-def: $vgpr58
; %bb.1533:                             ;   in Loop: Header=BB12_1526 Depth=2
	s_andn2_saveexec_b64 s[50:51], vcc
; %bb.1534:                             ;   in Loop: Header=BB12_1526 Depth=2
	v_or_b32_e32 v46, 0x10000, v58
	v_cmp_eq_u32_sdwa vcc, v58, v1 src0_sel:WORD_0 src1_sel:DWORD
	s_nop 1
	v_cndmask_b32_e32 v46, v46, v58, vcc
; %bb.1535:                             ;   in Loop: Header=BB12_1526 Depth=2
	s_or_b64 exec, exec, s[50:51]
	v_lshlrev_b32_e32 v41, 16, v41
	v_lshlrev_b32_e32 v58, 16, v32
	v_mul_f32_e32 v58, v41, v58
	v_and_b32_e32 v41, 0x7f800000, v58
	v_cmp_ne_u32_e32 vcc, s66, v41
                                        ; implicit-def: $vgpr41
	s_and_saveexec_b64 s[50:51], vcc
	s_xor_b64 vcc, exec, s[50:51]
; %bb.1536:                             ;   in Loop: Header=BB12_1526 Depth=2
	v_bfe_u32 v41, v58, 16, 1
	v_add3_u32 v41, v58, v41, s67
                                        ; implicit-def: $vgpr58
; %bb.1537:                             ;   in Loop: Header=BB12_1526 Depth=2
	s_andn2_saveexec_b64 s[50:51], vcc
; %bb.1538:                             ;   in Loop: Header=BB12_1526 Depth=2
	v_or_b32_e32 v41, 0x10000, v58
	v_cmp_eq_u32_sdwa vcc, v58, v1 src0_sel:WORD_0 src1_sel:DWORD
	s_nop 1
	v_cndmask_b32_e32 v41, v41, v58, vcc
; %bb.1539:                             ;   in Loop: Header=BB12_1526 Depth=2
	s_or_b64 exec, exec, s[50:51]
	v_lshlrev_b32_e32 v52, 16, v52
	v_lshlrev_b32_e32 v58, 16, v30
	v_mul_f32_e32 v58, v52, v58
	v_and_b32_e32 v52, 0x7f800000, v58
	v_cmp_ne_u32_e32 vcc, s66, v52
                                        ; implicit-def: $vgpr52
	s_and_saveexec_b64 s[50:51], vcc
	s_xor_b64 vcc, exec, s[50:51]
; %bb.1540:                             ;   in Loop: Header=BB12_1526 Depth=2
	v_bfe_u32 v52, v58, 16, 1
	v_add3_u32 v52, v58, v52, s67
                                        ; implicit-def: $vgpr58
; %bb.1541:                             ;   in Loop: Header=BB12_1526 Depth=2
	s_andn2_saveexec_b64 s[50:51], vcc
; %bb.1542:                             ;   in Loop: Header=BB12_1526 Depth=2
	v_or_b32_e32 v52, 0x10000, v58
	v_cmp_eq_u32_sdwa vcc, v58, v1 src0_sel:WORD_0 src1_sel:DWORD
	s_nop 1
	v_cndmask_b32_e32 v52, v52, v58, vcc
; %bb.1543:                             ;   in Loop: Header=BB12_1526 Depth=2
	s_or_b64 exec, exec, s[50:51]
	v_lshlrev_b32_e32 v39, 16, v39
	v_lshlrev_b32_e32 v58, 16, v29
	v_mul_f32_e32 v58, v39, v58
	v_and_b32_e32 v39, 0x7f800000, v58
	v_cmp_ne_u32_e32 vcc, s66, v39
                                        ; implicit-def: $vgpr39
	s_and_saveexec_b64 s[50:51], vcc
	s_xor_b64 vcc, exec, s[50:51]
; %bb.1544:                             ;   in Loop: Header=BB12_1526 Depth=2
	v_bfe_u32 v39, v58, 16, 1
	v_add3_u32 v39, v58, v39, s67
                                        ; implicit-def: $vgpr58
; %bb.1545:                             ;   in Loop: Header=BB12_1526 Depth=2
	s_andn2_saveexec_b64 s[50:51], vcc
; %bb.1546:                             ;   in Loop: Header=BB12_1526 Depth=2
	v_or_b32_e32 v39, 0x10000, v58
	v_cmp_eq_u32_sdwa vcc, v58, v1 src0_sel:WORD_0 src1_sel:DWORD
	s_nop 1
	v_cndmask_b32_e32 v39, v39, v58, vcc
; %bb.1547:                             ;   in Loop: Header=BB12_1526 Depth=2
	s_or_b64 exec, exec, s[50:51]
	v_accvgpr_read_b32 v27, a40
	v_lshlrev_b32_e32 v38, 16, v38
	v_lshlrev_b32_e32 v58, 16, v27
	v_mul_f32_e32 v58, v38, v58
	v_and_b32_e32 v38, 0x7f800000, v58
	v_cmp_ne_u32_e32 vcc, s66, v38
                                        ; implicit-def: $vgpr38
	s_and_saveexec_b64 s[50:51], vcc
	s_xor_b64 vcc, exec, s[50:51]
; %bb.1548:                             ;   in Loop: Header=BB12_1526 Depth=2
	v_bfe_u32 v38, v58, 16, 1
	v_add3_u32 v38, v58, v38, s67
                                        ; implicit-def: $vgpr58
; %bb.1549:                             ;   in Loop: Header=BB12_1526 Depth=2
	s_andn2_saveexec_b64 s[50:51], vcc
; %bb.1550:                             ;   in Loop: Header=BB12_1526 Depth=2
	v_or_b32_e32 v38, 0x10000, v58
	v_cmp_eq_u32_sdwa vcc, v58, v1 src0_sel:WORD_0 src1_sel:DWORD
	s_nop 1
	v_cndmask_b32_e32 v38, v38, v58, vcc
; %bb.1551:                             ;   in Loop: Header=BB12_1526 Depth=2
	s_or_b64 exec, exec, s[50:51]
	v_accvgpr_read_b32 v27, a31
	v_lshlrev_b32_e32 v37, 16, v37
	v_lshlrev_b32_e32 v58, 16, v27
	v_mul_f32_e32 v58, v37, v58
	v_and_b32_e32 v37, 0x7f800000, v58
	v_cmp_ne_u32_e32 vcc, s66, v37
                                        ; implicit-def: $vgpr37
	s_and_saveexec_b64 s[50:51], vcc
	s_xor_b64 vcc, exec, s[50:51]
; %bb.1552:                             ;   in Loop: Header=BB12_1526 Depth=2
	v_bfe_u32 v37, v58, 16, 1
	v_add3_u32 v37, v58, v37, s67
                                        ; implicit-def: $vgpr58
; %bb.1553:                             ;   in Loop: Header=BB12_1526 Depth=2
	s_andn2_saveexec_b64 s[50:51], vcc
; %bb.1554:                             ;   in Loop: Header=BB12_1526 Depth=2
	v_or_b32_e32 v37, 0x10000, v58
	v_cmp_eq_u32_sdwa vcc, v58, v1 src0_sel:WORD_0 src1_sel:DWORD
	s_nop 1
	v_cndmask_b32_e32 v37, v37, v58, vcc
; %bb.1555:                             ;   in Loop: Header=BB12_1526 Depth=2
	s_or_b64 exec, exec, s[50:51]
	v_accvgpr_read_b32 v27, a23
	v_lshlrev_b32_e32 v36, 16, v36
	v_lshlrev_b32_e32 v58, 16, v27
	v_mul_f32_e32 v58, v36, v58
	v_and_b32_e32 v36, 0x7f800000, v58
	v_cmp_ne_u32_e32 vcc, s66, v36
                                        ; implicit-def: $vgpr36
	s_and_saveexec_b64 s[50:51], vcc
	s_xor_b64 vcc, exec, s[50:51]
; %bb.1556:                             ;   in Loop: Header=BB12_1526 Depth=2
	v_bfe_u32 v36, v58, 16, 1
	v_add3_u32 v36, v58, v36, s67
                                        ; implicit-def: $vgpr58
; %bb.1557:                             ;   in Loop: Header=BB12_1526 Depth=2
	s_andn2_saveexec_b64 s[50:51], vcc
; %bb.1558:                             ;   in Loop: Header=BB12_1526 Depth=2
	v_or_b32_e32 v36, 0x10000, v58
	v_cmp_eq_u32_sdwa vcc, v58, v1 src0_sel:WORD_0 src1_sel:DWORD
	s_nop 1
	v_cndmask_b32_e32 v36, v36, v58, vcc
; %bb.1559:                             ;   in Loop: Header=BB12_1526 Depth=2
	s_or_b64 exec, exec, s[50:51]
	v_accvgpr_read_b32 v27, a22
	v_lshlrev_b32_e32 v34, 16, v34
	v_lshlrev_b32_e32 v58, 16, v27
	v_mul_f32_e32 v58, v34, v58
	v_and_b32_e32 v34, 0x7f800000, v58
	v_cmp_ne_u32_e32 vcc, s66, v34
                                        ; implicit-def: $vgpr34
	s_and_saveexec_b64 s[50:51], vcc
	s_xor_b64 vcc, exec, s[50:51]
; %bb.1560:                             ;   in Loop: Header=BB12_1526 Depth=2
	v_bfe_u32 v34, v58, 16, 1
	v_add3_u32 v34, v58, v34, s67
                                        ; implicit-def: $vgpr58
; %bb.1561:                             ;   in Loop: Header=BB12_1526 Depth=2
	s_andn2_saveexec_b64 s[50:51], vcc
; %bb.1562:                             ;   in Loop: Header=BB12_1526 Depth=2
	v_or_b32_e32 v34, 0x10000, v58
	v_cmp_eq_u32_sdwa vcc, v58, v1 src0_sel:WORD_0 src1_sel:DWORD
	s_nop 1
	v_cndmask_b32_e32 v34, v34, v58, vcc
; %bb.1563:                             ;   in Loop: Header=BB12_1526 Depth=2
	s_or_b64 exec, exec, s[50:51]
	v_accvgpr_read_b32 v27, a21
	v_lshlrev_b32_e32 v31, 16, v31
	v_lshlrev_b32_e32 v58, 16, v27
	v_mul_f32_e32 v58, v31, v58
	v_and_b32_e32 v31, 0x7f800000, v58
	v_cmp_ne_u32_e32 vcc, s66, v31
                                        ; implicit-def: $vgpr31
	s_and_saveexec_b64 s[50:51], vcc
	s_xor_b64 vcc, exec, s[50:51]
; %bb.1564:                             ;   in Loop: Header=BB12_1526 Depth=2
	v_bfe_u32 v31, v58, 16, 1
	v_add3_u32 v31, v58, v31, s67
                                        ; implicit-def: $vgpr58
; %bb.1565:                             ;   in Loop: Header=BB12_1526 Depth=2
	s_andn2_saveexec_b64 s[50:51], vcc
; %bb.1566:                             ;   in Loop: Header=BB12_1526 Depth=2
	v_or_b32_e32 v31, 0x10000, v58
	v_cmp_eq_u32_sdwa vcc, v58, v1 src0_sel:WORD_0 src1_sel:DWORD
	s_nop 1
	v_cndmask_b32_e32 v31, v31, v58, vcc
; %bb.1567:                             ;   in Loop: Header=BB12_1526 Depth=2
	s_or_b64 exec, exec, s[50:51]
	v_accvgpr_read_b32 v27, a20
	v_lshlrev_b32_e32 v28, 16, v28
	v_lshlrev_b32_e32 v58, 16, v27
	v_mul_f32_e32 v58, v28, v58
	v_and_b32_e32 v28, 0x7f800000, v58
	v_cmp_ne_u32_e32 vcc, s66, v28
                                        ; implicit-def: $vgpr28
	s_and_saveexec_b64 s[50:51], vcc
	s_xor_b64 vcc, exec, s[50:51]
; %bb.1568:                             ;   in Loop: Header=BB12_1526 Depth=2
	v_bfe_u32 v28, v58, 16, 1
	v_add3_u32 v28, v58, v28, s67
                                        ; implicit-def: $vgpr58
; %bb.1569:                             ;   in Loop: Header=BB12_1526 Depth=2
	s_andn2_saveexec_b64 s[50:51], vcc
; %bb.1570:                             ;   in Loop: Header=BB12_1526 Depth=2
	v_or_b32_e32 v28, 0x10000, v58
	v_cmp_eq_u32_sdwa vcc, v58, v1 src0_sel:WORD_0 src1_sel:DWORD
	s_nop 1
	v_cndmask_b32_e32 v28, v28, v58, vcc
; %bb.1571:                             ;   in Loop: Header=BB12_1526 Depth=2
	s_or_b64 exec, exec, s[50:51]
	v_accvgpr_read_b32 v27, a14
	v_lshlrev_b32_e32 v25, 16, v25
	v_lshlrev_b32_e32 v58, 16, v27
	v_mul_f32_e32 v58, v25, v58
	v_and_b32_e32 v25, 0x7f800000, v58
	v_cmp_ne_u32_e32 vcc, s66, v25
                                        ; implicit-def: $vgpr25
	s_and_saveexec_b64 s[50:51], vcc
	s_xor_b64 vcc, exec, s[50:51]
; %bb.1572:                             ;   in Loop: Header=BB12_1526 Depth=2
	v_bfe_u32 v25, v58, 16, 1
	v_add3_u32 v25, v58, v25, s67
                                        ; implicit-def: $vgpr58
; %bb.1573:                             ;   in Loop: Header=BB12_1526 Depth=2
	s_andn2_saveexec_b64 s[50:51], vcc
; %bb.1574:                             ;   in Loop: Header=BB12_1526 Depth=2
	v_or_b32_e32 v25, 0x10000, v58
	v_cmp_eq_u32_sdwa vcc, v58, v1 src0_sel:WORD_0 src1_sel:DWORD
	s_nop 1
	v_cndmask_b32_e32 v25, v25, v58, vcc
; %bb.1575:                             ;   in Loop: Header=BB12_1526 Depth=2
	s_or_b64 exec, exec, s[50:51]
	v_accvgpr_read_b32 v27, a12
	v_lshlrev_b32_e32 v21, 16, v21
	v_lshlrev_b32_e32 v58, 16, v27
	v_mul_f32_e32 v58, v21, v58
	v_and_b32_e32 v21, 0x7f800000, v58
	v_cmp_ne_u32_e32 vcc, s66, v21
                                        ; implicit-def: $vgpr21
	s_and_saveexec_b64 s[50:51], vcc
	s_xor_b64 vcc, exec, s[50:51]
; %bb.1576:                             ;   in Loop: Header=BB12_1526 Depth=2
	v_bfe_u32 v21, v58, 16, 1
	v_add3_u32 v21, v58, v21, s67
                                        ; implicit-def: $vgpr58
; %bb.1577:                             ;   in Loop: Header=BB12_1526 Depth=2
	s_andn2_saveexec_b64 s[50:51], vcc
; %bb.1578:                             ;   in Loop: Header=BB12_1526 Depth=2
	v_or_b32_e32 v21, 0x10000, v58
	v_cmp_eq_u32_sdwa vcc, v58, v1 src0_sel:WORD_0 src1_sel:DWORD
	s_nop 1
	v_cndmask_b32_e32 v21, v21, v58, vcc
; %bb.1579:                             ;   in Loop: Header=BB12_1526 Depth=2
	s_or_b64 exec, exec, s[50:51]
	v_accvgpr_read_b32 v27, a11
	v_lshlrev_b32_e32 v18, 16, v18
	v_lshlrev_b32_e32 v58, 16, v27
	v_mul_f32_e32 v58, v18, v58
	v_and_b32_e32 v18, 0x7f800000, v58
	v_cmp_ne_u32_e32 vcc, s66, v18
                                        ; implicit-def: $vgpr18
	s_and_saveexec_b64 s[50:51], vcc
	s_xor_b64 vcc, exec, s[50:51]
; %bb.1580:                             ;   in Loop: Header=BB12_1526 Depth=2
	v_bfe_u32 v18, v58, 16, 1
	v_add3_u32 v18, v58, v18, s67
                                        ; implicit-def: $vgpr58
; %bb.1581:                             ;   in Loop: Header=BB12_1526 Depth=2
	s_andn2_saveexec_b64 s[50:51], vcc
; %bb.1582:                             ;   in Loop: Header=BB12_1526 Depth=2
	v_or_b32_e32 v18, 0x10000, v58
	v_cmp_eq_u32_sdwa vcc, v58, v1 src0_sel:WORD_0 src1_sel:DWORD
	s_nop 1
	v_cndmask_b32_e32 v18, v18, v58, vcc
; %bb.1583:                             ;   in Loop: Header=BB12_1526 Depth=2
	s_or_b64 exec, exec, s[50:51]
	v_accvgpr_read_b32 v27, a10
	v_lshlrev_b32_e32 v15, 16, v15
	v_lshlrev_b32_e32 v58, 16, v27
	v_mul_f32_e32 v58, v15, v58
	v_and_b32_e32 v15, 0x7f800000, v58
	v_cmp_ne_u32_e32 vcc, s66, v15
                                        ; implicit-def: $vgpr15
	s_and_saveexec_b64 s[50:51], vcc
	s_xor_b64 vcc, exec, s[50:51]
; %bb.1584:                             ;   in Loop: Header=BB12_1526 Depth=2
	v_bfe_u32 v15, v58, 16, 1
	v_add3_u32 v15, v58, v15, s67
                                        ; implicit-def: $vgpr58
; %bb.1585:                             ;   in Loop: Header=BB12_1526 Depth=2
	s_andn2_saveexec_b64 s[50:51], vcc
; %bb.1586:                             ;   in Loop: Header=BB12_1526 Depth=2
	v_or_b32_e32 v15, 0x10000, v58
	v_cmp_eq_u32_sdwa vcc, v58, v1 src0_sel:WORD_0 src1_sel:DWORD
	s_nop 1
	v_cndmask_b32_e32 v15, v15, v58, vcc
; %bb.1587:                             ;   in Loop: Header=BB12_1526 Depth=2
	s_or_b64 exec, exec, s[50:51]
	v_accvgpr_read_b32 v27, a5
	v_lshlrev_b32_e32 v13, 16, v13
	v_lshlrev_b32_e32 v58, 16, v27
	v_mul_f32_e32 v58, v13, v58
	v_and_b32_e32 v13, 0x7f800000, v58
	v_cmp_ne_u32_e32 vcc, s66, v13
                                        ; implicit-def: $vgpr13
	s_and_saveexec_b64 s[50:51], vcc
	s_xor_b64 vcc, exec, s[50:51]
; %bb.1588:                             ;   in Loop: Header=BB12_1526 Depth=2
	v_bfe_u32 v13, v58, 16, 1
	v_add3_u32 v13, v58, v13, s67
                                        ; implicit-def: $vgpr58
; %bb.1589:                             ;   in Loop: Header=BB12_1526 Depth=2
	s_andn2_saveexec_b64 s[50:51], vcc
; %bb.1590:                             ;   in Loop: Header=BB12_1526 Depth=2
	v_or_b32_e32 v13, 0x10000, v58
	v_cmp_eq_u32_sdwa vcc, v58, v1 src0_sel:WORD_0 src1_sel:DWORD
	s_nop 1
	v_cndmask_b32_e32 v13, v13, v58, vcc
; %bb.1591:                             ;   in Loop: Header=BB12_1526 Depth=2
	s_or_b64 exec, exec, s[50:51]
	v_lshrrev_b32_e32 v58, 16, v26
	v_accvgpr_read_b32 v26, a46
	v_accvgpr_read_b32 v27, a47
	v_lshrrev_b32_e32 v15, 16, v15
	v_lshrrev_b32_e32 v18, 16, v18
	;; [unrolled: 1-line block ×15, first 2 shown]
	flat_store_short v[2:3], v58 nt
	flat_store_short v[2:3], v46 offset:128 nt
	flat_store_short v[2:3], v41 offset:256 nt
	;; [unrolled: 1-line block ×15, first 2 shown]
	v_lshl_add_u64 v[2:3], v[2:3], 0, v[26:27]
.LBB12_1592:                            ;   in Loop: Header=BB12_1526 Depth=2
	s_or_b64 exec, exec, s[52:53]
	v_accvgpr_read_b32 v26, a46
	v_accvgpr_read_b32 v27, a47
	v_lshl_add_u64 v[4:5], v[4:5], 0, v[26:27]
	v_lshl_add_u64 v[6:7], v[6:7], 0, v[26:27]
	v_accvgpr_read_b32 v27, a1
	v_accvgpr_read_b32 v26, a0
	v_sub_u32_e32 v26, v8, v26
	v_cmp_lt_i32_e64 s[50:51], 0, v26
	s_and_saveexec_b64 vcc, s[50:51]
	s_cbranch_execz .LBB12_1594
; %bb.1593:                             ;   in Loop: Header=BB12_1526 Depth=2
	flat_load_ushort v58, v[4:5] nt
	flat_load_ushort v46, v[4:5] offset:128 nt
	flat_load_ushort v41, v[4:5] offset:256 nt
	;; [unrolled: 1-line block ×15, first 2 shown]
	flat_load_ushort v35, v[6:7] nt
	flat_load_ushort v33, v[6:7] offset:128 nt
	flat_load_ushort v32, v[6:7] offset:256 nt
	;; [unrolled: 1-line block ×15, first 2 shown]
	v_lshl_add_u64 v[4:5], v[4:5], 0, s[36:37]
	v_lshl_add_u64 v[6:7], v[6:7], 0, s[36:37]
.LBB12_1594:                            ;   in Loop: Header=BB12_1526 Depth=2
	s_or_b64 exec, exec, vcc
	s_waitcnt vmcnt(0) lgkmcnt(0)
	v_lshlrev_b32_e32 v8, 16, v24
	v_lshlrev_b32_e32 v24, 16, v9
	v_pk_mul_f32 v[8:9], v[8:9], v[24:25] op_sel_hi:[0,1]
	v_and_b32_e32 v9, 0x7f800000, v8
	v_cmp_ne_u32_e32 vcc, s66, v9
                                        ; implicit-def: $vgpr24
	s_and_saveexec_b64 s[52:53], vcc
	s_xor_b64 vcc, exec, s[52:53]
; %bb.1595:                             ;   in Loop: Header=BB12_1526 Depth=2
	v_bfe_u32 v9, v8, 16, 1
	v_add3_u32 v24, v8, v9, s67
                                        ; implicit-def: $vgpr8_vgpr9
; %bb.1596:                             ;   in Loop: Header=BB12_1526 Depth=2
	s_andn2_saveexec_b64 s[52:53], vcc
; %bb.1597:                             ;   in Loop: Header=BB12_1526 Depth=2
	v_or_b32_e32 v9, 0x10000, v8
	v_cmp_eq_u32_sdwa vcc, v8, v1 src0_sel:WORD_0 src1_sel:DWORD
	s_nop 1
	v_cndmask_b32_e32 v24, v9, v8, vcc
; %bb.1598:                             ;   in Loop: Header=BB12_1526 Depth=2
	s_or_b64 exec, exec, s[52:53]
	v_lshlrev_b32_e32 v8, 16, v23
	v_lshlrev_b32_e32 v22, 16, v22
	v_pk_mul_f32 v[8:9], v[8:9], v[22:23] op_sel_hi:[0,1]
	v_and_b32_e32 v9, 0x7f800000, v8
	v_cmp_ne_u32_e32 vcc, s66, v9
                                        ; implicit-def: $vgpr22
	s_and_saveexec_b64 s[52:53], vcc
	s_xor_b64 vcc, exec, s[52:53]
; %bb.1599:                             ;   in Loop: Header=BB12_1526 Depth=2
	v_bfe_u32 v9, v8, 16, 1
	v_add3_u32 v22, v8, v9, s67
                                        ; implicit-def: $vgpr8_vgpr9
; %bb.1600:                             ;   in Loop: Header=BB12_1526 Depth=2
	s_andn2_saveexec_b64 s[52:53], vcc
; %bb.1601:                             ;   in Loop: Header=BB12_1526 Depth=2
	v_or_b32_e32 v9, 0x10000, v8
	v_cmp_eq_u32_sdwa vcc, v8, v1 src0_sel:WORD_0 src1_sel:DWORD
	s_nop 1
	v_cndmask_b32_e32 v22, v9, v8, vcc
; %bb.1602:                             ;   in Loop: Header=BB12_1526 Depth=2
	s_or_b64 exec, exec, s[52:53]
	v_lshlrev_b32_e32 v8, 16, v20
	v_lshlrev_b32_e32 v20, 16, v19
	v_pk_mul_f32 v[8:9], v[8:9], v[20:21] op_sel_hi:[0,1]
	v_and_b32_e32 v9, 0x7f800000, v8
	v_cmp_ne_u32_e32 vcc, s66, v9
                                        ; implicit-def: $vgpr19
	s_and_saveexec_b64 s[52:53], vcc
	s_xor_b64 vcc, exec, s[52:53]
; %bb.1603:                             ;   in Loop: Header=BB12_1526 Depth=2
	v_bfe_u32 v9, v8, 16, 1
	v_add3_u32 v19, v8, v9, s67
                                        ; implicit-def: $vgpr8_vgpr9
; %bb.1604:                             ;   in Loop: Header=BB12_1526 Depth=2
	s_andn2_saveexec_b64 s[52:53], vcc
; %bb.1605:                             ;   in Loop: Header=BB12_1526 Depth=2
	v_or_b32_e32 v9, 0x10000, v8
	v_cmp_eq_u32_sdwa vcc, v8, v1 src0_sel:WORD_0 src1_sel:DWORD
	s_nop 1
	v_cndmask_b32_e32 v19, v9, v8, vcc
; %bb.1606:                             ;   in Loop: Header=BB12_1526 Depth=2
	s_or_b64 exec, exec, s[52:53]
	v_lshlrev_b32_e32 v8, 16, v17
	v_lshlrev_b32_e32 v16, 16, v16
	v_pk_mul_f32 v[8:9], v[8:9], v[16:17] op_sel_hi:[0,1]
	v_and_b32_e32 v9, 0x7f800000, v8
	v_cmp_ne_u32_e32 vcc, s66, v9
                                        ; implicit-def: $vgpr16
	s_and_saveexec_b64 s[52:53], vcc
	s_xor_b64 vcc, exec, s[52:53]
; %bb.1607:                             ;   in Loop: Header=BB12_1526 Depth=2
	v_bfe_u32 v9, v8, 16, 1
	v_add3_u32 v16, v8, v9, s67
                                        ; implicit-def: $vgpr8_vgpr9
; %bb.1608:                             ;   in Loop: Header=BB12_1526 Depth=2
	s_andn2_saveexec_b64 s[52:53], vcc
; %bb.1609:                             ;   in Loop: Header=BB12_1526 Depth=2
	v_or_b32_e32 v9, 0x10000, v8
	v_cmp_eq_u32_sdwa vcc, v8, v1 src0_sel:WORD_0 src1_sel:DWORD
	s_nop 1
	v_cndmask_b32_e32 v16, v9, v8, vcc
; %bb.1610:                             ;   in Loop: Header=BB12_1526 Depth=2
	s_or_b64 exec, exec, s[52:53]
	v_lshlrev_b32_e32 v8, 16, v14
	v_lshlrev_b32_e32 v12, 16, v12
	v_pk_mul_f32 v[8:9], v[8:9], v[12:13] op_sel_hi:[0,1]
	v_and_b32_e32 v9, 0x7f800000, v8
	v_cmp_ne_u32_e32 vcc, s66, v9
                                        ; implicit-def: $vgpr12
	s_and_saveexec_b64 s[52:53], vcc
	s_xor_b64 vcc, exec, s[52:53]
; %bb.1611:                             ;   in Loop: Header=BB12_1526 Depth=2
	v_bfe_u32 v9, v8, 16, 1
	v_add3_u32 v12, v8, v9, s67
                                        ; implicit-def: $vgpr8_vgpr9
; %bb.1612:                             ;   in Loop: Header=BB12_1526 Depth=2
	s_andn2_saveexec_b64 s[52:53], vcc
; %bb.1613:                             ;   in Loop: Header=BB12_1526 Depth=2
	v_or_b32_e32 v9, 0x10000, v8
	v_cmp_eq_u32_sdwa vcc, v8, v1 src0_sel:WORD_0 src1_sel:DWORD
	s_nop 1
	v_cndmask_b32_e32 v12, v9, v8, vcc
; %bb.1614:                             ;   in Loop: Header=BB12_1526 Depth=2
	s_or_b64 exec, exec, s[52:53]
	v_lshlrev_b32_e32 v8, 16, v10
	v_lshlrev_b32_e32 v10, 16, v11
	v_pk_mul_f32 v[8:9], v[8:9], v[10:11] op_sel_hi:[0,1]
	v_and_b32_e32 v9, 0x7f800000, v8
	v_cmp_ne_u32_e32 vcc, s66, v9
                                        ; implicit-def: $vgpr10
	s_and_saveexec_b64 s[52:53], vcc
	s_xor_b64 vcc, exec, s[52:53]
; %bb.1615:                             ;   in Loop: Header=BB12_1526 Depth=2
	v_bfe_u32 v9, v8, 16, 1
	v_add3_u32 v10, v8, v9, s67
                                        ; implicit-def: $vgpr8_vgpr9
; %bb.1616:                             ;   in Loop: Header=BB12_1526 Depth=2
	s_andn2_saveexec_b64 s[52:53], vcc
; %bb.1617:                             ;   in Loop: Header=BB12_1526 Depth=2
	v_or_b32_e32 v9, 0x10000, v8
	v_cmp_eq_u32_sdwa vcc, v8, v1 src0_sel:WORD_0 src1_sel:DWORD
	s_nop 1
	v_cndmask_b32_e32 v10, v9, v8, vcc
; %bb.1618:                             ;   in Loop: Header=BB12_1526 Depth=2
	s_or_b64 exec, exec, s[52:53]
	v_lshlrev_b32_e32 v0, 16, v0
	v_lshlrev_b32_e32 v8, 16, v62
	v_pk_mul_f32 v[8:9], v[0:1], v[8:9] op_sel_hi:[0,1]
	v_and_b32_e32 v0, 0x7f800000, v8
	v_cmp_ne_u32_e32 vcc, s66, v0
                                        ; implicit-def: $vgpr0
	s_and_saveexec_b64 s[52:53], vcc
	s_xor_b64 vcc, exec, s[52:53]
; %bb.1619:                             ;   in Loop: Header=BB12_1526 Depth=2
	v_bfe_u32 v0, v8, 16, 1
	v_add3_u32 v0, v8, v0, s67
                                        ; implicit-def: $vgpr8_vgpr9
; %bb.1620:                             ;   in Loop: Header=BB12_1526 Depth=2
	s_andn2_saveexec_b64 s[52:53], vcc
; %bb.1621:                             ;   in Loop: Header=BB12_1526 Depth=2
	v_or_b32_e32 v0, 0x10000, v8
	v_cmp_eq_u32_sdwa vcc, v8, v1 src0_sel:WORD_0 src1_sel:DWORD
	s_nop 1
	v_cndmask_b32_e32 v0, v0, v8, vcc
; %bb.1622:                             ;   in Loop: Header=BB12_1526 Depth=2
	s_or_b64 exec, exec, s[52:53]
	v_lshlrev_b32_e32 v8, 16, v61
	v_lshlrev_b32_e32 v14, 16, v60
	v_pk_mul_f32 v[8:9], v[8:9], v[14:15] op_sel_hi:[0,1]
	v_and_b32_e32 v9, 0x7f800000, v8
	v_cmp_ne_u32_e32 vcc, s66, v9
                                        ; implicit-def: $vgpr11
	s_and_saveexec_b64 s[52:53], vcc
	s_xor_b64 vcc, exec, s[52:53]
; %bb.1623:                             ;   in Loop: Header=BB12_1526 Depth=2
	v_bfe_u32 v9, v8, 16, 1
	v_add3_u32 v11, v8, v9, s67
                                        ; implicit-def: $vgpr8_vgpr9
; %bb.1624:                             ;   in Loop: Header=BB12_1526 Depth=2
	s_andn2_saveexec_b64 s[52:53], vcc
; %bb.1625:                             ;   in Loop: Header=BB12_1526 Depth=2
	v_or_b32_e32 v9, 0x10000, v8
	v_cmp_eq_u32_sdwa vcc, v8, v1 src0_sel:WORD_0 src1_sel:DWORD
	s_nop 1
	v_cndmask_b32_e32 v11, v9, v8, vcc
; %bb.1626:                             ;   in Loop: Header=BB12_1526 Depth=2
	s_or_b64 exec, exec, s[52:53]
	v_lshlrev_b32_e32 v8, 16, v59
	v_lshlrev_b32_e32 v14, 16, v57
	v_pk_mul_f32 v[8:9], v[8:9], v[14:15] op_sel_hi:[0,1]
	v_and_b32_e32 v9, 0x7f800000, v8
	v_cmp_ne_u32_e32 vcc, s66, v9
                                        ; implicit-def: $vgpr14
	s_and_saveexec_b64 s[52:53], vcc
	s_xor_b64 vcc, exec, s[52:53]
; %bb.1627:                             ;   in Loop: Header=BB12_1526 Depth=2
	v_bfe_u32 v9, v8, 16, 1
	v_add3_u32 v14, v8, v9, s67
                                        ; implicit-def: $vgpr8_vgpr9
; %bb.1628:                             ;   in Loop: Header=BB12_1526 Depth=2
	s_andn2_saveexec_b64 s[52:53], vcc
; %bb.1629:                             ;   in Loop: Header=BB12_1526 Depth=2
	v_or_b32_e32 v9, 0x10000, v8
	v_cmp_eq_u32_sdwa vcc, v8, v1 src0_sel:WORD_0 src1_sel:DWORD
	s_nop 1
	v_cndmask_b32_e32 v14, v9, v8, vcc
; %bb.1630:                             ;   in Loop: Header=BB12_1526 Depth=2
	s_or_b64 exec, exec, s[52:53]
	v_lshlrev_b32_e32 v8, 16, v56
	v_lshlrev_b32_e32 v20, 16, v47
	v_pk_mul_f32 v[8:9], v[8:9], v[20:21] op_sel_hi:[0,1]
	v_and_b32_e32 v9, 0x7f800000, v8
	v_cmp_ne_u32_e32 vcc, s66, v9
                                        ; implicit-def: $vgpr17
	s_and_saveexec_b64 s[52:53], vcc
	s_xor_b64 vcc, exec, s[52:53]
; %bb.1631:                             ;   in Loop: Header=BB12_1526 Depth=2
	v_bfe_u32 v9, v8, 16, 1
	v_add3_u32 v17, v8, v9, s67
                                        ; implicit-def: $vgpr8_vgpr9
; %bb.1632:                             ;   in Loop: Header=BB12_1526 Depth=2
	s_andn2_saveexec_b64 s[52:53], vcc
; %bb.1633:                             ;   in Loop: Header=BB12_1526 Depth=2
	v_or_b32_e32 v9, 0x10000, v8
	v_cmp_eq_u32_sdwa vcc, v8, v1 src0_sel:WORD_0 src1_sel:DWORD
	s_nop 1
	v_cndmask_b32_e32 v17, v9, v8, vcc
; %bb.1634:                             ;   in Loop: Header=BB12_1526 Depth=2
	s_or_b64 exec, exec, s[52:53]
	v_lshlrev_b32_e32 v8, 16, v45
	v_lshlrev_b32_e32 v20, 16, v44
	v_pk_mul_f32 v[8:9], v[8:9], v[20:21] op_sel_hi:[0,1]
	v_and_b32_e32 v9, 0x7f800000, v8
	v_cmp_ne_u32_e32 vcc, s66, v9
                                        ; implicit-def: $vgpr20
	s_and_saveexec_b64 s[52:53], vcc
	s_xor_b64 vcc, exec, s[52:53]
; %bb.1635:                             ;   in Loop: Header=BB12_1526 Depth=2
	v_bfe_u32 v9, v8, 16, 1
	v_add3_u32 v20, v8, v9, s67
                                        ; implicit-def: $vgpr8_vgpr9
; %bb.1636:                             ;   in Loop: Header=BB12_1526 Depth=2
	s_andn2_saveexec_b64 s[52:53], vcc
; %bb.1637:                             ;   in Loop: Header=BB12_1526 Depth=2
	v_or_b32_e32 v9, 0x10000, v8
	v_cmp_eq_u32_sdwa vcc, v8, v1 src0_sel:WORD_0 src1_sel:DWORD
	s_nop 1
	v_cndmask_b32_e32 v20, v9, v8, vcc
; %bb.1638:                             ;   in Loop: Header=BB12_1526 Depth=2
	s_or_b64 exec, exec, s[52:53]
	v_lshlrev_b32_e32 v8, 16, v43
	v_lshlrev_b32_e32 v42, 16, v42
	v_pk_mul_f32 v[8:9], v[8:9], v[42:43] op_sel_hi:[0,1]
	v_and_b32_e32 v9, 0x7f800000, v8
	v_cmp_ne_u32_e32 vcc, s66, v9
                                        ; implicit-def: $vgpr23
	s_and_saveexec_b64 s[52:53], vcc
	s_xor_b64 vcc, exec, s[52:53]
; %bb.1639:                             ;   in Loop: Header=BB12_1526 Depth=2
	v_bfe_u32 v9, v8, 16, 1
	v_add3_u32 v23, v8, v9, s67
                                        ; implicit-def: $vgpr8_vgpr9
; %bb.1640:                             ;   in Loop: Header=BB12_1526 Depth=2
	s_andn2_saveexec_b64 s[52:53], vcc
; %bb.1641:                             ;   in Loop: Header=BB12_1526 Depth=2
	v_or_b32_e32 v9, 0x10000, v8
	v_cmp_eq_u32_sdwa vcc, v8, v1 src0_sel:WORD_0 src1_sel:DWORD
	s_nop 1
	v_cndmask_b32_e32 v23, v9, v8, vcc
; %bb.1642:                             ;   in Loop: Header=BB12_1526 Depth=2
	s_or_b64 exec, exec, s[52:53]
	v_lshlrev_b32_e32 v8, 16, v40
	v_lshlrev_b32_e32 v40, 16, v55
	v_pk_mul_f32 v[8:9], v[8:9], v[40:41] op_sel_hi:[0,1]
	v_and_b32_e32 v9, 0x7f800000, v8
	v_cmp_ne_u32_e32 vcc, s66, v9
                                        ; implicit-def: $vgpr55
	s_and_saveexec_b64 s[52:53], vcc
	s_xor_b64 vcc, exec, s[52:53]
; %bb.1643:                             ;   in Loop: Header=BB12_1526 Depth=2
	v_bfe_u32 v9, v8, 16, 1
	v_add3_u32 v55, v8, v9, s67
                                        ; implicit-def: $vgpr8_vgpr9
; %bb.1644:                             ;   in Loop: Header=BB12_1526 Depth=2
	s_andn2_saveexec_b64 s[52:53], vcc
; %bb.1645:                             ;   in Loop: Header=BB12_1526 Depth=2
	v_or_b32_e32 v9, 0x10000, v8
	v_cmp_eq_u32_sdwa vcc, v8, v1 src0_sel:WORD_0 src1_sel:DWORD
	s_nop 1
	v_cndmask_b32_e32 v55, v9, v8, vcc
; %bb.1646:                             ;   in Loop: Header=BB12_1526 Depth=2
	s_or_b64 exec, exec, s[52:53]
	v_lshlrev_b32_e32 v8, 16, v54
	v_lshlrev_b32_e32 v54, 16, v53
	v_pk_mul_f32 v[8:9], v[8:9], v[54:55] op_sel_hi:[0,1]
	v_and_b32_e32 v9, 0x7f800000, v8
	v_cmp_ne_u32_e32 vcc, s66, v9
                                        ; implicit-def: $vgpr53
	s_and_saveexec_b64 s[52:53], vcc
	s_xor_b64 vcc, exec, s[52:53]
; %bb.1647:                             ;   in Loop: Header=BB12_1526 Depth=2
	v_bfe_u32 v9, v8, 16, 1
	v_add3_u32 v53, v8, v9, s67
                                        ; implicit-def: $vgpr8_vgpr9
; %bb.1648:                             ;   in Loop: Header=BB12_1526 Depth=2
	s_andn2_saveexec_b64 s[52:53], vcc
; %bb.1649:                             ;   in Loop: Header=BB12_1526 Depth=2
	v_or_b32_e32 v9, 0x10000, v8
	v_cmp_eq_u32_sdwa vcc, v8, v1 src0_sel:WORD_0 src1_sel:DWORD
	s_nop 1
	v_cndmask_b32_e32 v53, v9, v8, vcc
; %bb.1650:                             ;   in Loop: Header=BB12_1526 Depth=2
	s_or_b64 exec, exec, s[52:53]
	v_lshlrev_b32_e32 v8, 16, v51
	v_lshlrev_b32_e32 v50, 16, v50
	v_pk_mul_f32 v[8:9], v[8:9], v[50:51] op_sel_hi:[0,1]
	v_and_b32_e32 v9, 0x7f800000, v8
	v_cmp_ne_u32_e32 vcc, s66, v9
                                        ; implicit-def: $vgpr50
	s_and_saveexec_b64 s[52:53], vcc
	s_xor_b64 vcc, exec, s[52:53]
; %bb.1651:                             ;   in Loop: Header=BB12_1526 Depth=2
	v_bfe_u32 v9, v8, 16, 1
	v_add3_u32 v50, v8, v9, s67
                                        ; implicit-def: $vgpr8_vgpr9
; %bb.1652:                             ;   in Loop: Header=BB12_1526 Depth=2
	s_andn2_saveexec_b64 s[52:53], vcc
; %bb.1653:                             ;   in Loop: Header=BB12_1526 Depth=2
	v_or_b32_e32 v9, 0x10000, v8
	v_cmp_eq_u32_sdwa vcc, v8, v1 src0_sel:WORD_0 src1_sel:DWORD
	s_nop 1
	v_cndmask_b32_e32 v50, v9, v8, vcc
; %bb.1654:                             ;   in Loop: Header=BB12_1526 Depth=2
	s_or_b64 exec, exec, s[52:53]
	v_lshlrev_b32_e32 v8, 16, v49
	v_lshlrev_b32_e32 v48, 16, v48
	v_pk_mul_f32 v[8:9], v[8:9], v[48:49] op_sel_hi:[0,1]
	v_and_b32_e32 v9, 0x7f800000, v8
	v_cmp_ne_u32_e32 vcc, s66, v9
                                        ; implicit-def: $vgpr48
	s_and_saveexec_b64 s[52:53], vcc
	s_xor_b64 vcc, exec, s[52:53]
; %bb.1655:                             ;   in Loop: Header=BB12_1526 Depth=2
	v_bfe_u32 v9, v8, 16, 1
	v_add3_u32 v48, v8, v9, s67
                                        ; implicit-def: $vgpr8_vgpr9
; %bb.1656:                             ;   in Loop: Header=BB12_1526 Depth=2
	s_andn2_saveexec_b64 s[52:53], vcc
	s_cbranch_execz .LBB12_1525
; %bb.1657:                             ;   in Loop: Header=BB12_1526 Depth=2
	v_or_b32_e32 v9, 0x10000, v8
	v_cmp_eq_u32_sdwa vcc, v8, v1 src0_sel:WORD_0 src1_sel:DWORD
	s_nop 1
	v_cndmask_b32_e32 v48, v9, v8, vcc
	s_branch .LBB12_1525
.LBB12_1658:                            ;   in Loop: Header=BB12_943 Depth=1
	s_or_b64 exec, exec, s[16:17]
	scratch_load_dword v48, off, s33 offset:364 ; 4-byte Folded Reload
	scratch_load_dword v49, off, s33 offset:380 ; 4-byte Folded Reload
	;; [unrolled: 1-line block ×6, first 2 shown]
	scratch_load_dwordx2 v[42:43], off, s33 offset:308 ; 8-byte Folded Reload
	scratch_load_dwordx2 v[44:45], off, s33 offset:316 ; 8-byte Folded Reload
	v_accvgpr_read_b32 v57, a55
	s_and_b64 s[16:17], s[48:49], exec
	v_accvgpr_read_b32 v56, a54
	v_mov_b32_e32 v55, 0x80
	v_accvgpr_read_b32 v40, a49
	v_accvgpr_read_b32 v47, a58
.LBB12_1659:                            ;   in Loop: Header=BB12_943 Depth=1
	s_or_b64 exec, exec, s[14:15]
	s_and_saveexec_b64 s[14:15], s[16:17]
	s_cbranch_execz .LBB12_1725
; %bb.1660:                             ;   in Loop: Header=BB12_943 Depth=1
	v_lshlrev_b32_e32 v0, 16, v58
	v_lshlrev_b32_e32 v4, 16, v35
	v_mul_f32_e32 v4, v4, v0
	v_and_b32_e32 v0, 0x7f800000, v4
	v_cmp_ne_u32_e32 vcc, s66, v0
                                        ; implicit-def: $vgpr0
	s_and_saveexec_b64 s[16:17], vcc
	s_xor_b64 s[16:17], exec, s[16:17]
; %bb.1661:                             ;   in Loop: Header=BB12_943 Depth=1
	v_bfe_u32 v0, v4, 16, 1
	v_add3_u32 v0, v4, v0, s67
                                        ; implicit-def: $vgpr4
; %bb.1662:                             ;   in Loop: Header=BB12_943 Depth=1
	s_andn2_saveexec_b64 s[16:17], s[16:17]
; %bb.1663:                             ;   in Loop: Header=BB12_943 Depth=1
	v_or_b32_e32 v0, 0x10000, v4
	v_cmp_eq_u32_sdwa vcc, v4, v1 src0_sel:WORD_0 src1_sel:DWORD
	s_nop 1
	v_cndmask_b32_e32 v0, v0, v4, vcc
; %bb.1664:                             ;   in Loop: Header=BB12_943 Depth=1
	s_or_b64 exec, exec, s[16:17]
	v_lshlrev_b32_e32 v4, 16, v46
	v_lshlrev_b32_e32 v5, 16, v33
	v_mul_f32_e32 v5, v5, v4
	v_and_b32_e32 v4, 0x7f800000, v5
	v_cmp_ne_u32_e32 vcc, s66, v4
                                        ; implicit-def: $vgpr4
	s_and_saveexec_b64 s[16:17], vcc
	s_xor_b64 s[16:17], exec, s[16:17]
; %bb.1665:                             ;   in Loop: Header=BB12_943 Depth=1
	v_bfe_u32 v4, v5, 16, 1
	v_add3_u32 v4, v5, v4, s67
                                        ; implicit-def: $vgpr5
; %bb.1666:                             ;   in Loop: Header=BB12_943 Depth=1
	s_andn2_saveexec_b64 s[16:17], s[16:17]
; %bb.1667:                             ;   in Loop: Header=BB12_943 Depth=1
	v_or_b32_e32 v4, 0x10000, v5
	v_cmp_eq_u32_sdwa vcc, v5, v1 src0_sel:WORD_0 src1_sel:DWORD
	s_nop 1
	v_cndmask_b32_e32 v4, v4, v5, vcc
; %bb.1668:                             ;   in Loop: Header=BB12_943 Depth=1
	s_or_b64 exec, exec, s[16:17]
	v_lshlrev_b32_e32 v5, 16, v41
	v_lshlrev_b32_e32 v6, 16, v32
	v_mul_f32_e32 v6, v6, v5
	v_and_b32_e32 v5, 0x7f800000, v6
	v_cmp_ne_u32_e32 vcc, s66, v5
                                        ; implicit-def: $vgpr5
	s_and_saveexec_b64 s[16:17], vcc
	s_xor_b64 s[16:17], exec, s[16:17]
; %bb.1669:                             ;   in Loop: Header=BB12_943 Depth=1
	v_bfe_u32 v5, v6, 16, 1
	v_add3_u32 v5, v6, v5, s67
                                        ; implicit-def: $vgpr6
; %bb.1670:                             ;   in Loop: Header=BB12_943 Depth=1
	s_andn2_saveexec_b64 s[16:17], s[16:17]
; %bb.1671:                             ;   in Loop: Header=BB12_943 Depth=1
	v_or_b32_e32 v5, 0x10000, v6
	v_cmp_eq_u32_sdwa vcc, v6, v1 src0_sel:WORD_0 src1_sel:DWORD
	s_nop 1
	v_cndmask_b32_e32 v5, v5, v6, vcc
; %bb.1672:                             ;   in Loop: Header=BB12_943 Depth=1
	s_or_b64 exec, exec, s[16:17]
	v_lshlrev_b32_e32 v6, 16, v52
	v_lshlrev_b32_e32 v7, 16, v30
	v_mul_f32_e32 v7, v7, v6
	v_and_b32_e32 v6, 0x7f800000, v7
	v_cmp_ne_u32_e32 vcc, s66, v6
                                        ; implicit-def: $vgpr6
	s_and_saveexec_b64 s[16:17], vcc
	s_xor_b64 s[16:17], exec, s[16:17]
; %bb.1673:                             ;   in Loop: Header=BB12_943 Depth=1
	v_bfe_u32 v6, v7, 16, 1
	v_add3_u32 v6, v7, v6, s67
                                        ; implicit-def: $vgpr7
; %bb.1674:                             ;   in Loop: Header=BB12_943 Depth=1
	s_andn2_saveexec_b64 s[16:17], s[16:17]
; %bb.1675:                             ;   in Loop: Header=BB12_943 Depth=1
	v_or_b32_e32 v6, 0x10000, v7
	v_cmp_eq_u32_sdwa vcc, v7, v1 src0_sel:WORD_0 src1_sel:DWORD
	s_nop 1
	v_cndmask_b32_e32 v6, v6, v7, vcc
; %bb.1676:                             ;   in Loop: Header=BB12_943 Depth=1
	s_or_b64 exec, exec, s[16:17]
	v_lshlrev_b32_e32 v7, 16, v39
	v_lshlrev_b32_e32 v9, 16, v29
	v_mul_f32_e32 v9, v9, v7
	v_and_b32_e32 v7, 0x7f800000, v9
	v_cmp_ne_u32_e32 vcc, s66, v7
                                        ; implicit-def: $vgpr7
	s_and_saveexec_b64 s[16:17], vcc
	s_xor_b64 s[16:17], exec, s[16:17]
; %bb.1677:                             ;   in Loop: Header=BB12_943 Depth=1
	v_bfe_u32 v7, v9, 16, 1
	v_add3_u32 v7, v9, v7, s67
                                        ; implicit-def: $vgpr9
; %bb.1678:                             ;   in Loop: Header=BB12_943 Depth=1
	s_andn2_saveexec_b64 s[16:17], s[16:17]
; %bb.1679:                             ;   in Loop: Header=BB12_943 Depth=1
	v_or_b32_e32 v7, 0x10000, v9
	v_cmp_eq_u32_sdwa vcc, v9, v1 src0_sel:WORD_0 src1_sel:DWORD
	s_nop 1
	v_cndmask_b32_e32 v7, v7, v9, vcc
; %bb.1680:                             ;   in Loop: Header=BB12_943 Depth=1
	s_or_b64 exec, exec, s[16:17]
	v_accvgpr_read_b32 v10, a40
	v_lshlrev_b32_e32 v9, 16, v38
	v_lshlrev_b32_e32 v10, 16, v10
	v_mul_f32_e32 v10, v10, v9
	v_and_b32_e32 v9, 0x7f800000, v10
	v_cmp_ne_u32_e32 vcc, s66, v9
                                        ; implicit-def: $vgpr9
	s_and_saveexec_b64 s[16:17], vcc
	s_xor_b64 s[16:17], exec, s[16:17]
; %bb.1681:                             ;   in Loop: Header=BB12_943 Depth=1
	v_bfe_u32 v9, v10, 16, 1
	v_add3_u32 v9, v10, v9, s67
                                        ; implicit-def: $vgpr10
; %bb.1682:                             ;   in Loop: Header=BB12_943 Depth=1
	s_andn2_saveexec_b64 s[16:17], s[16:17]
; %bb.1683:                             ;   in Loop: Header=BB12_943 Depth=1
	v_or_b32_e32 v9, 0x10000, v10
	v_cmp_eq_u32_sdwa vcc, v10, v1 src0_sel:WORD_0 src1_sel:DWORD
	s_nop 1
	v_cndmask_b32_e32 v9, v9, v10, vcc
; %bb.1684:                             ;   in Loop: Header=BB12_943 Depth=1
	s_or_b64 exec, exec, s[16:17]
	v_accvgpr_read_b32 v11, a31
	v_lshlrev_b32_e32 v10, 16, v37
	v_lshlrev_b32_e32 v11, 16, v11
	v_mul_f32_e32 v11, v11, v10
	v_and_b32_e32 v10, 0x7f800000, v11
	v_cmp_ne_u32_e32 vcc, s66, v10
                                        ; implicit-def: $vgpr10
	s_and_saveexec_b64 s[16:17], vcc
	s_xor_b64 s[16:17], exec, s[16:17]
; %bb.1685:                             ;   in Loop: Header=BB12_943 Depth=1
	v_bfe_u32 v10, v11, 16, 1
	v_add3_u32 v10, v11, v10, s67
                                        ; implicit-def: $vgpr11
; %bb.1686:                             ;   in Loop: Header=BB12_943 Depth=1
	s_andn2_saveexec_b64 s[16:17], s[16:17]
; %bb.1687:                             ;   in Loop: Header=BB12_943 Depth=1
	v_or_b32_e32 v10, 0x10000, v11
	v_cmp_eq_u32_sdwa vcc, v11, v1 src0_sel:WORD_0 src1_sel:DWORD
	s_nop 1
	v_cndmask_b32_e32 v10, v10, v11, vcc
; %bb.1688:                             ;   in Loop: Header=BB12_943 Depth=1
	s_or_b64 exec, exec, s[16:17]
	v_accvgpr_read_b32 v12, a23
	v_lshlrev_b32_e32 v11, 16, v36
	v_lshlrev_b32_e32 v12, 16, v12
	v_mul_f32_e32 v12, v12, v11
	v_and_b32_e32 v11, 0x7f800000, v12
	v_cmp_ne_u32_e32 vcc, s66, v11
                                        ; implicit-def: $vgpr11
	s_and_saveexec_b64 s[16:17], vcc
	s_xor_b64 s[16:17], exec, s[16:17]
; %bb.1689:                             ;   in Loop: Header=BB12_943 Depth=1
	v_bfe_u32 v11, v12, 16, 1
	v_add3_u32 v11, v12, v11, s67
                                        ; implicit-def: $vgpr12
; %bb.1690:                             ;   in Loop: Header=BB12_943 Depth=1
	s_andn2_saveexec_b64 s[16:17], s[16:17]
; %bb.1691:                             ;   in Loop: Header=BB12_943 Depth=1
	v_or_b32_e32 v11, 0x10000, v12
	v_cmp_eq_u32_sdwa vcc, v12, v1 src0_sel:WORD_0 src1_sel:DWORD
	s_nop 1
	v_cndmask_b32_e32 v11, v11, v12, vcc
; %bb.1692:                             ;   in Loop: Header=BB12_943 Depth=1
	s_or_b64 exec, exec, s[16:17]
	v_accvgpr_read_b32 v14, a22
	v_lshlrev_b32_e32 v12, 16, v34
	v_lshlrev_b32_e32 v14, 16, v14
	v_mul_f32_e32 v14, v14, v12
	v_and_b32_e32 v12, 0x7f800000, v14
	v_cmp_ne_u32_e32 vcc, s66, v12
                                        ; implicit-def: $vgpr12
	s_and_saveexec_b64 s[16:17], vcc
	s_xor_b64 s[16:17], exec, s[16:17]
; %bb.1693:                             ;   in Loop: Header=BB12_943 Depth=1
	v_bfe_u32 v12, v14, 16, 1
	v_add3_u32 v12, v14, v12, s67
                                        ; implicit-def: $vgpr14
; %bb.1694:                             ;   in Loop: Header=BB12_943 Depth=1
	s_andn2_saveexec_b64 s[16:17], s[16:17]
; %bb.1695:                             ;   in Loop: Header=BB12_943 Depth=1
	v_or_b32_e32 v12, 0x10000, v14
	v_cmp_eq_u32_sdwa vcc, v14, v1 src0_sel:WORD_0 src1_sel:DWORD
	s_nop 1
	v_cndmask_b32_e32 v12, v12, v14, vcc
; %bb.1696:                             ;   in Loop: Header=BB12_943 Depth=1
	s_or_b64 exec, exec, s[16:17]
	v_accvgpr_read_b32 v16, a21
	v_lshlrev_b32_e32 v14, 16, v31
	v_lshlrev_b32_e32 v16, 16, v16
	v_mul_f32_e32 v16, v16, v14
	v_and_b32_e32 v14, 0x7f800000, v16
	v_cmp_ne_u32_e32 vcc, s66, v14
                                        ; implicit-def: $vgpr14
	s_and_saveexec_b64 s[16:17], vcc
	s_xor_b64 s[16:17], exec, s[16:17]
; %bb.1697:                             ;   in Loop: Header=BB12_943 Depth=1
	v_bfe_u32 v14, v16, 16, 1
	v_add3_u32 v14, v16, v14, s67
                                        ; implicit-def: $vgpr16
; %bb.1698:                             ;   in Loop: Header=BB12_943 Depth=1
	s_andn2_saveexec_b64 s[16:17], s[16:17]
; %bb.1699:                             ;   in Loop: Header=BB12_943 Depth=1
	v_or_b32_e32 v14, 0x10000, v16
	v_cmp_eq_u32_sdwa vcc, v16, v1 src0_sel:WORD_0 src1_sel:DWORD
	s_nop 1
	v_cndmask_b32_e32 v14, v14, v16, vcc
; %bb.1700:                             ;   in Loop: Header=BB12_943 Depth=1
	s_or_b64 exec, exec, s[16:17]
	v_accvgpr_read_b32 v17, a20
	v_lshlrev_b32_e32 v16, 16, v28
	v_lshlrev_b32_e32 v17, 16, v17
	v_mul_f32_e32 v17, v17, v16
	v_and_b32_e32 v16, 0x7f800000, v17
	v_cmp_ne_u32_e32 vcc, s66, v16
                                        ; implicit-def: $vgpr16
	s_and_saveexec_b64 s[16:17], vcc
	s_xor_b64 s[16:17], exec, s[16:17]
; %bb.1701:                             ;   in Loop: Header=BB12_943 Depth=1
	v_bfe_u32 v16, v17, 16, 1
	v_add3_u32 v16, v17, v16, s67
                                        ; implicit-def: $vgpr17
; %bb.1702:                             ;   in Loop: Header=BB12_943 Depth=1
	s_andn2_saveexec_b64 s[16:17], s[16:17]
; %bb.1703:                             ;   in Loop: Header=BB12_943 Depth=1
	v_or_b32_e32 v16, 0x10000, v17
	v_cmp_eq_u32_sdwa vcc, v17, v1 src0_sel:WORD_0 src1_sel:DWORD
	s_nop 1
	v_cndmask_b32_e32 v16, v16, v17, vcc
; %bb.1704:                             ;   in Loop: Header=BB12_943 Depth=1
	s_or_b64 exec, exec, s[16:17]
	v_accvgpr_read_b32 v19, a14
	v_lshlrev_b32_e32 v17, 16, v25
	v_lshlrev_b32_e32 v19, 16, v19
	v_mul_f32_e32 v19, v19, v17
	v_and_b32_e32 v17, 0x7f800000, v19
	v_cmp_ne_u32_e32 vcc, s66, v17
                                        ; implicit-def: $vgpr17
	s_and_saveexec_b64 s[16:17], vcc
	s_xor_b64 s[16:17], exec, s[16:17]
; %bb.1705:                             ;   in Loop: Header=BB12_943 Depth=1
	v_bfe_u32 v17, v19, 16, 1
	v_add3_u32 v17, v19, v17, s67
                                        ; implicit-def: $vgpr19
; %bb.1706:                             ;   in Loop: Header=BB12_943 Depth=1
	s_andn2_saveexec_b64 s[16:17], s[16:17]
; %bb.1707:                             ;   in Loop: Header=BB12_943 Depth=1
	v_or_b32_e32 v17, 0x10000, v19
	v_cmp_eq_u32_sdwa vcc, v19, v1 src0_sel:WORD_0 src1_sel:DWORD
	s_nop 1
	v_cndmask_b32_e32 v17, v17, v19, vcc
; %bb.1708:                             ;   in Loop: Header=BB12_943 Depth=1
	s_or_b64 exec, exec, s[16:17]
	v_accvgpr_read_b32 v20, a12
	v_lshlrev_b32_e32 v19, 16, v21
	v_lshlrev_b32_e32 v20, 16, v20
	v_mul_f32_e32 v20, v20, v19
	v_and_b32_e32 v19, 0x7f800000, v20
	v_cmp_ne_u32_e32 vcc, s66, v19
                                        ; implicit-def: $vgpr19
	s_and_saveexec_b64 s[16:17], vcc
	s_xor_b64 s[16:17], exec, s[16:17]
; %bb.1709:                             ;   in Loop: Header=BB12_943 Depth=1
	v_bfe_u32 v19, v20, 16, 1
	v_add3_u32 v19, v20, v19, s67
                                        ; implicit-def: $vgpr20
; %bb.1710:                             ;   in Loop: Header=BB12_943 Depth=1
	s_andn2_saveexec_b64 s[16:17], s[16:17]
; %bb.1711:                             ;   in Loop: Header=BB12_943 Depth=1
	v_or_b32_e32 v19, 0x10000, v20
	v_cmp_eq_u32_sdwa vcc, v20, v1 src0_sel:WORD_0 src1_sel:DWORD
	s_nop 1
	v_cndmask_b32_e32 v19, v19, v20, vcc
; %bb.1712:                             ;   in Loop: Header=BB12_943 Depth=1
	s_or_b64 exec, exec, s[16:17]
	v_accvgpr_read_b32 v20, a11
	v_lshlrev_b32_e32 v18, 16, v18
	v_lshlrev_b32_e32 v20, 16, v20
	v_mul_f32_e32 v20, v20, v18
	v_and_b32_e32 v18, 0x7f800000, v20
	v_cmp_ne_u32_e32 vcc, s66, v18
                                        ; implicit-def: $vgpr18
	s_and_saveexec_b64 s[16:17], vcc
	s_xor_b64 s[16:17], exec, s[16:17]
; %bb.1713:                             ;   in Loop: Header=BB12_943 Depth=1
	v_bfe_u32 v18, v20, 16, 1
	v_add3_u32 v18, v20, v18, s67
                                        ; implicit-def: $vgpr20
; %bb.1714:                             ;   in Loop: Header=BB12_943 Depth=1
	s_andn2_saveexec_b64 s[16:17], s[16:17]
; %bb.1715:                             ;   in Loop: Header=BB12_943 Depth=1
	v_or_b32_e32 v18, 0x10000, v20
	v_cmp_eq_u32_sdwa vcc, v20, v1 src0_sel:WORD_0 src1_sel:DWORD
	s_nop 1
	v_cndmask_b32_e32 v18, v18, v20, vcc
; %bb.1716:                             ;   in Loop: Header=BB12_943 Depth=1
	s_or_b64 exec, exec, s[16:17]
	v_accvgpr_read_b32 v20, a10
	v_lshlrev_b32_e32 v15, 16, v15
	v_lshlrev_b32_e32 v20, 16, v20
	v_mul_f32_e32 v20, v20, v15
	v_and_b32_e32 v15, 0x7f800000, v20
	v_cmp_ne_u32_e32 vcc, s66, v15
                                        ; implicit-def: $vgpr15
	s_and_saveexec_b64 s[16:17], vcc
	s_xor_b64 s[16:17], exec, s[16:17]
; %bb.1717:                             ;   in Loop: Header=BB12_943 Depth=1
	v_bfe_u32 v15, v20, 16, 1
	v_add3_u32 v15, v20, v15, s67
                                        ; implicit-def: $vgpr20
; %bb.1718:                             ;   in Loop: Header=BB12_943 Depth=1
	s_andn2_saveexec_b64 s[16:17], s[16:17]
; %bb.1719:                             ;   in Loop: Header=BB12_943 Depth=1
	v_or_b32_e32 v15, 0x10000, v20
	v_cmp_eq_u32_sdwa vcc, v20, v1 src0_sel:WORD_0 src1_sel:DWORD
	s_nop 1
	v_cndmask_b32_e32 v15, v15, v20, vcc
; %bb.1720:                             ;   in Loop: Header=BB12_943 Depth=1
	s_or_b64 exec, exec, s[16:17]
	v_accvgpr_read_b32 v20, a5
	v_lshlrev_b32_e32 v13, 16, v13
	v_lshlrev_b32_e32 v20, 16, v20
	v_mul_f32_e32 v20, v20, v13
	v_and_b32_e32 v13, 0x7f800000, v20
	v_cmp_ne_u32_e32 vcc, s66, v13
                                        ; implicit-def: $vgpr13
	s_and_saveexec_b64 s[16:17], vcc
	s_xor_b64 s[16:17], exec, s[16:17]
; %bb.1721:                             ;   in Loop: Header=BB12_943 Depth=1
	v_bfe_u32 v13, v20, 16, 1
	v_add3_u32 v13, v20, v13, s67
                                        ; implicit-def: $vgpr20
; %bb.1722:                             ;   in Loop: Header=BB12_943 Depth=1
	s_andn2_saveexec_b64 s[16:17], s[16:17]
; %bb.1723:                             ;   in Loop: Header=BB12_943 Depth=1
	v_or_b32_e32 v13, 0x10000, v20
	v_cmp_eq_u32_sdwa vcc, v20, v1 src0_sel:WORD_0 src1_sel:DWORD
	s_nop 1
	v_cndmask_b32_e32 v13, v13, v20, vcc
; %bb.1724:                             ;   in Loop: Header=BB12_943 Depth=1
	s_or_b64 exec, exec, s[16:17]
	flat_store_short_d16_hi v[2:3], v0 nt
	flat_store_short_d16_hi v[2:3], v4 offset:128 nt
	flat_store_short_d16_hi v[2:3], v5 offset:256 nt
	;; [unrolled: 1-line block ×15, first 2 shown]
.LBB12_1725:                            ;   in Loop: Header=BB12_943 Depth=1
	s_or_b64 exec, exec, s[14:15]
	v_accvgpr_read_b32 v0, a4
	v_lshlrev_b32_e32 v0, 11, v0
	v_cmp_ne_u32_e32 vcc, v47, v0
	s_and_b64 s[14:15], exec, vcc
	v_accvgpr_read_b32 v30, a57
	v_accvgpr_read_b32 v5, a2
	;; [unrolled: 1-line block ×3, first 2 shown]
	s_mov_b64 exec, s[14:15]
	s_cbranch_execz .LBB12_1751
; %bb.1726:                             ;   in Loop: Header=BB12_943 Depth=1
	v_lshlrev_b32_e32 v2, 6, v8
	v_sub_u32_e32 v2, v3, v2
	v_ashrrev_i32_e32 v3, 31, v2
	v_lshrrev_b32_e32 v3, 26, v3
	v_add_u32_e32 v3, v2, v3
	v_and_b32_e32 v4, 0x7fffffc0, v3
	v_sub_u32_e32 v2, v2, v4
	v_lshlrev_b32_e32 v3, 1, v3
	v_and_b32_e32 v3, 0xffffff80, v3
	v_lshlrev_b32_e32 v2, 1, v2
	v_add3_u32 v0, v3, v2, v0
	scratch_load_dwordx2 v[2:3], off, s33 offset:296 ; 8-byte Folded Reload
	v_add_u32_e32 v4, v0, v5
	v_sub_u32_e32 v0, v47, v0
	v_ashrrev_i32_e32 v5, 31, v4
	v_cmp_lt_i32_e32 vcc, 1, v0
	s_mov_b64 s[14:15], 0
	s_waitcnt vmcnt(0)
	v_lshl_add_u64 v[2:3], v[4:5], 0, v[2:3]
	s_and_saveexec_b64 s[48:49], vcc
	s_cbranch_execz .LBB12_1745
; %bb.1727:                             ;   in Loop: Header=BB12_943 Depth=1
	s_trap 2
	ds_read_b128 v[6:9], v0
	s_mov_b64 s[54:55], 0
	s_mov_b64 s[50:51], 0
                                        ; implicit-def: $sgpr52_sgpr53
	s_waitcnt lgkmcnt(0)
	v_lshl_add_u64 v[6:7], v[6:7], 0, v[4:5]
	v_lshl_add_u64 v[4:5], v[8:9], 0, v[4:5]
	s_branch .LBB12_1729
.LBB12_1728:                            ;   in Loop: Header=BB12_1729 Depth=2
	s_or_b64 exec, exec, s[14:15]
	v_lshrrev_b32_e32 v8, 16, v10
	scratch_store_short off, v8, s33 offset:192
	flat_store_short v[2:3], v8 nt
	v_lshl_add_u64 v[8:9], v[6:7], 0, v[42:43]
	v_cndmask_b32_e64 v6, v6, v8, s[54:55]
	v_cndmask_b32_e64 v8, 0, v54, s[54:55]
	v_sub_u32_e32 v0, v0, v8
	v_cmp_gt_i32_e32 vcc, 2, v0
	s_or_b64 s[50:51], vcc, s[50:51]
	v_lshl_add_u64 v[10:11], v[4:5], 0, v[42:43]
	v_cndmask_b32_e64 v13, 0, v45, s[54:55]
	v_cndmask_b32_e64 v12, v55, v44, s[54:55]
	s_andn2_b64 s[14:15], s[52:53], exec
	s_and_b64 s[16:17], s[54:55], exec
	v_lshl_add_u64 v[2:3], v[2:3], 0, v[12:13]
	v_cndmask_b32_e64 v5, v5, v11, s[54:55]
	v_cndmask_b32_e64 v4, v4, v10, s[54:55]
	;; [unrolled: 1-line block ×3, first 2 shown]
	s_or_b64 s[52:53], s[14:15], s[16:17]
	s_andn2_b64 exec, exec, s[50:51]
	s_cbranch_execz .LBB12_1744
.LBB12_1729:                            ;   Parent Loop BB12_943 Depth=1
                                        ; =>  This Loop Header: Depth=2
                                        ;       Child Loop BB12_1730 Depth 3
                                        ;       Child Loop BB12_1739 Depth 3
	s_add_i32 s14, s33, 0xc0
	v_mov_b32_e32 v8, s14
	s_mov_b64 s[56:57], -1
	s_mov_b64 s[58:59], 0
.LBB12_1730:                            ;   Parent Loop BB12_943 Depth=1
                                        ;     Parent Loop BB12_1729 Depth=2
                                        ; =>    This Inner Loop Header: Depth=3
	s_cmp_eq_u32 s58, 1
	s_cselect_b64 vcc, -1, 0
	v_cndmask_b32_e32 v11, v7, v5, vcc
	v_cndmask_b32_e32 v10, v6, v4, vcc
	flat_load_ushort v9, v[10:11] nt
	s_cmp_eq_u32 s58, 0
	v_lshl_add_u64 v[10:11], v[10:11], 0, s[38:39]
	s_cselect_b64 s[14:15], -1, 0
	s_and_b64 s[16:17], exec, s[56:57]
	v_cndmask_b32_e64 v7, v7, v11, s[14:15]
	v_cndmask_b32_e64 v6, v6, v10, s[14:15]
	s_add_i32 s14, s33, 0xe0
	s_mov_b64 s[58:59], 1
	s_mov_b64 s[56:57], 0
	v_cndmask_b32_e32 v5, v5, v11, vcc
	v_cndmask_b32_e32 v4, v4, v10, vcc
	s_mov_b64 vcc, s[16:17]
	s_waitcnt vmcnt(0) lgkmcnt(0)
	scratch_store_short v8, v9, off
	v_mov_b32_e32 v8, s14
	s_cbranch_vccnz .LBB12_1730
; %bb.1731:                             ;   in Loop: Header=BB12_1729 Depth=2
	s_and_saveexec_b64 s[14:15], s[54:55]
	s_cbranch_execz .LBB12_1737
; %bb.1732:                             ;   in Loop: Header=BB12_1729 Depth=2
	scratch_load_ushort v8, off, s33 offset:190
	scratch_load_ushort v9, off, s33 offset:188
	s_waitcnt vmcnt(1)
	v_lshlrev_b32_e32 v8, 16, v8
	s_waitcnt vmcnt(0)
	v_lshlrev_b32_e32 v10, 16, v9
	v_pk_mul_f32 v[8:9], v[8:9], v[10:11] op_sel_hi:[0,1]
	v_and_b32_e32 v9, 0x7f800000, v8
	v_cmp_ne_u32_e32 vcc, s66, v9
                                        ; implicit-def: $vgpr10
	s_and_saveexec_b64 s[16:17], vcc
	s_xor_b64 s[16:17], exec, s[16:17]
; %bb.1733:                             ;   in Loop: Header=BB12_1729 Depth=2
	v_bfe_u32 v9, v8, 16, 1
	v_add3_u32 v10, v8, v9, s67
                                        ; implicit-def: $vgpr8_vgpr9
; %bb.1734:                             ;   in Loop: Header=BB12_1729 Depth=2
	s_andn2_saveexec_b64 s[16:17], s[16:17]
; %bb.1735:                             ;   in Loop: Header=BB12_1729 Depth=2
	v_or_b32_e32 v9, 0x10000, v8
	v_cmp_eq_u32_sdwa vcc, v8, v1 src0_sel:WORD_0 src1_sel:DWORD
	s_nop 1
	v_cndmask_b32_e32 v10, v9, v8, vcc
; %bb.1736:                             ;   in Loop: Header=BB12_1729 Depth=2
	s_or_b64 exec, exec, s[16:17]
	v_lshrrev_b32_e32 v8, 16, v10
	scratch_store_short off, v8, s33 offset:188
	flat_store_short v[2:3], v8 nt
	v_lshl_add_u64 v[2:3], v[2:3], 0, v[44:45]
.LBB12_1737:                            ;   in Loop: Header=BB12_1729 Depth=2
	s_or_b64 exec, exec, s[14:15]
	v_sub_u32_e32 v0, v0, v54
	v_lshl_add_u64 v[6:7], v[6:7], 0, v[42:43]
	v_lshl_add_u64 v[4:5], v[4:5], 0, v[42:43]
	v_cmp_lt_i32_e64 s[54:55], 1, v0
	s_and_saveexec_b64 s[56:57], s[54:55]
	s_cbranch_execz .LBB12_1740
; %bb.1738:                             ;   in Loop: Header=BB12_1729 Depth=2
	s_add_i32 s14, s33, 0xbc
	v_mov_b32_e32 v8, s14
	s_mov_b64 s[60:61], 0
	s_mov_b64 s[58:59], -1
.LBB12_1739:                            ;   Parent Loop BB12_943 Depth=1
                                        ;     Parent Loop BB12_1729 Depth=2
                                        ; =>    This Inner Loop Header: Depth=3
	s_cmp_eq_u32 s60, 1
	s_cselect_b64 vcc, -1, 0
	v_cndmask_b32_e32 v11, v7, v5, vcc
	v_cndmask_b32_e32 v10, v6, v4, vcc
	flat_load_ushort v9, v[10:11] nt
	s_cmp_eq_u32 s60, 0
	v_lshl_add_u64 v[10:11], v[10:11], 0, s[38:39]
	s_cselect_b64 s[14:15], -1, 0
	s_and_b64 s[16:17], exec, s[58:59]
	v_cndmask_b32_e64 v7, v7, v11, s[14:15]
	v_cndmask_b32_e64 v6, v6, v10, s[14:15]
	s_add_i32 s14, s33, 0xbe
	s_mov_b64 s[60:61], 1
	s_mov_b64 s[58:59], 0
	v_cndmask_b32_e32 v5, v5, v11, vcc
	v_cndmask_b32_e32 v4, v4, v10, vcc
	s_mov_b64 vcc, s[16:17]
	s_waitcnt vmcnt(0) lgkmcnt(0)
	scratch_store_short v8, v9, off
	v_mov_b32_e32 v8, s14
	s_cbranch_vccnz .LBB12_1739
.LBB12_1740:                            ;   in Loop: Header=BB12_1729 Depth=2
	s_or_b64 exec, exec, s[56:57]
	scratch_load_ushort v8, off, s33 offset:224
	scratch_load_ushort v9, off, s33 offset:192
	s_waitcnt vmcnt(0)
	v_lshlrev_b32_e32 v8, 16, v8
	v_lshlrev_b32_e32 v10, 16, v9
	v_pk_mul_f32 v[8:9], v[8:9], v[10:11] op_sel_hi:[0,1]
	v_and_b32_e32 v9, 0x7f800000, v8
	v_cmp_ne_u32_e32 vcc, s66, v9
                                        ; implicit-def: $vgpr10
	s_and_saveexec_b64 s[14:15], vcc
	s_xor_b64 s[14:15], exec, s[14:15]
; %bb.1741:                             ;   in Loop: Header=BB12_1729 Depth=2
	v_bfe_u32 v9, v8, 16, 1
	v_add3_u32 v10, v8, v9, s67
                                        ; implicit-def: $vgpr8_vgpr9
; %bb.1742:                             ;   in Loop: Header=BB12_1729 Depth=2
	s_andn2_saveexec_b64 s[14:15], s[14:15]
	s_cbranch_execz .LBB12_1728
; %bb.1743:                             ;   in Loop: Header=BB12_1729 Depth=2
	v_or_b32_e32 v9, 0x10000, v8
	v_cmp_eq_u32_sdwa vcc, v8, v1 src0_sel:WORD_0 src1_sel:DWORD
	s_nop 1
	v_cndmask_b32_e32 v10, v9, v8, vcc
	s_branch .LBB12_1728
.LBB12_1744:                            ;   in Loop: Header=BB12_943 Depth=1
	s_or_b64 exec, exec, s[50:51]
	s_and_b64 s[14:15], s[52:53], exec
.LBB12_1745:                            ;   in Loop: Header=BB12_943 Depth=1
	s_or_b64 exec, exec, s[48:49]
	s_and_b64 exec, exec, s[14:15]
	s_cbranch_execz .LBB12_1751
; %bb.1746:                             ;   in Loop: Header=BB12_943 Depth=1
	scratch_load_ushort v0, off, s33 offset:190
	scratch_load_ushort v4, off, s33 offset:188
	s_waitcnt vmcnt(0)
	v_lshlrev_b32_e32 v0, 16, v0
	v_lshlrev_b32_e32 v4, 16, v4
	v_pk_mul_f32 v[4:5], v[0:1], v[4:5] op_sel_hi:[0,1]
	v_and_b32_e32 v0, 0x7f800000, v4
	v_cmp_ne_u32_e32 vcc, s66, v0
                                        ; implicit-def: $vgpr0
	s_and_saveexec_b64 s[14:15], vcc
	s_xor_b64 s[14:15], exec, s[14:15]
; %bb.1747:                             ;   in Loop: Header=BB12_943 Depth=1
	v_bfe_u32 v0, v4, 16, 1
	v_add3_u32 v0, v4, v0, s67
                                        ; implicit-def: $vgpr4_vgpr5
; %bb.1748:                             ;   in Loop: Header=BB12_943 Depth=1
	s_andn2_saveexec_b64 s[14:15], s[14:15]
; %bb.1749:                             ;   in Loop: Header=BB12_943 Depth=1
	v_or_b32_e32 v0, 0x10000, v4
	v_cmp_eq_u32_sdwa vcc, v4, v1 src0_sel:WORD_0 src1_sel:DWORD
	s_nop 1
	v_cndmask_b32_e32 v0, v0, v4, vcc
; %bb.1750:                             ;   in Loop: Header=BB12_943 Depth=1
	s_or_b64 exec, exec, s[14:15]
	flat_store_short_d16_hi v[2:3], v0 nt
.LBB12_1751:                            ;   in Loop: Header=BB12_943 Depth=1
	s_or_b64 exec, exec, s[18:19]
	s_waitcnt vmcnt(0)
	v_cmp_ne_u32_e64 s[14:15], 0, v30
.LBB12_1752:                            ;   in Loop: Header=BB12_943 Depth=1
	s_and_saveexec_b64 s[16:17], s[4:5]
	s_cbranch_execz .LBB12_1771
; %bb.1753:                             ;   in Loop: Header=BB12_943 Depth=1
	s_and_saveexec_b64 s[18:19], s[28:29]
	s_xor_b64 s[18:19], exec, s[18:19]
	s_cbranch_execz .LBB12_1768
; %bb.1754:                             ;   in Loop: Header=BB12_943 Depth=1
	s_and_saveexec_b64 s[48:49], s[6:7]
	s_cbranch_execz .LBB12_1767
; %bb.1755:                             ;   in Loop: Header=BB12_943 Depth=1
	s_mov_b64 s[52:53], exec
	v_mbcnt_lo_u32_b32 v0, s52, 0
	v_mbcnt_hi_u32_b32 v0, s53, v0
	v_cmp_eq_u32_e32 vcc, 0, v0
	s_waitcnt lgkmcnt(0)
	s_and_saveexec_b64 s[50:51], vcc
	s_cbranch_execz .LBB12_1757
; %bb.1756:                             ;   in Loop: Header=BB12_943 Depth=1
	s_bcnt1_i32_b64 vcc_lo, s[52:53]
	v_mov_b32_e32 v0, vcc_lo
	ds_add_u64 v0, v[0:1]
	s_trap 2
.LBB12_1757:                            ;   in Loop: Header=BB12_943 Depth=1
	s_or_b64 exec, exec, s[50:51]
	s_trap 2
	ds_read_b64 v[2:3], v0
	v_accvgpr_read_b32 v4, a36
	v_accvgpr_read_b32 v7, a1
	;; [unrolled: 1-line block ×4, first 2 shown]
	v_lshl_add_u64 v[4:5], v[4:5], 0, v[6:7]
	v_accvgpr_write_b32 a37, v5
	v_accvgpr_write_b32 a36, v4
	s_waitcnt lgkmcnt(0)
	v_cmp_lt_u64_e32 vcc, v[2:3], v[4:5]
	s_and_saveexec_b64 s[50:51], vcc
	s_cbranch_execz .LBB12_1766
; %bb.1758:                             ;   in Loop: Header=BB12_943 Depth=1
	s_mov_b32 s62, 0
	s_mov_b64 s[52:53], 0
                                        ; implicit-def: $sgpr54_sgpr55
                                        ; implicit-def: $sgpr56_sgpr57
	s_branch .LBB12_1760
.LBB12_1759:                            ;   in Loop: Header=BB12_1760 Depth=2
	s_or_b64 exec, exec, s[60:61]
	s_and_b64 vcc, exec, vcc
	s_or_b64 s[52:53], vcc, s[52:53]
	s_andn2_b64 vcc, s[54:55], exec
	s_and_b64 s[54:55], s[56:57], exec
	s_or_b64 s[54:55], vcc, s[54:55]
	s_andn2_b64 exec, exec, s[52:53]
	s_cbranch_execz .LBB12_1764
.LBB12_1760:                            ;   Parent Loop BB12_943 Depth=1
                                        ; =>  This Inner Loop Header: Depth=2
	s_add_i32 s62, s62, 1
	s_cmpk_lg_i32 s62, 0x2710
	s_cselect_b64 s[58:59], -1, 0
	s_and_b64 vcc, exec, s[58:59]
                                        ; implicit-def: $sgpr60_sgpr61
	s_cbranch_vccnz .LBB12_1762
; %bb.1761:                             ;   in Loop: Header=BB12_1760 Depth=2
	s_trap 2
	ds_read_b64 v[2:3], v0
	s_andn2_b64 s[58:59], s[58:59], exec
	s_mov_b32 s62, 0
	s_mov_b64 s[60:61], -1
	s_waitcnt vmcnt(0) lgkmcnt(0)
	flat_load_dword v0, v[2:3] sc0 sc1
	s_waitcnt vmcnt(0) lgkmcnt(0)
	buffer_inv sc0 sc1
	v_cmp_eq_u32_e32 vcc, 0, v0
	s_and_b64 vcc, vcc, exec
	s_or_b64 s[58:59], s[58:59], vcc
.LBB12_1762:                            ;   in Loop: Header=BB12_1760 Depth=2
	s_andn2_b64 s[56:57], s[56:57], exec
	s_and_b64 s[60:61], s[60:61], exec
	s_mov_b64 vcc, -1
	s_or_b64 s[56:57], s[56:57], s[60:61]
	s_and_saveexec_b64 s[60:61], s[58:59]
	s_cbranch_execz .LBB12_1759
; %bb.1763:                             ;   in Loop: Header=BB12_1760 Depth=2
	s_sleep 1
	s_trap 2
	ds_read_b64 v[2:3], v0
	v_accvgpr_read_b32 v4, a36
	v_accvgpr_read_b32 v5, a37
	s_andn2_b64 s[56:57], s[56:57], exec
	s_waitcnt lgkmcnt(0)
	v_cmp_ge_u64_e32 vcc, v[2:3], v[4:5]
	s_orn2_b64 vcc, vcc, exec
	s_branch .LBB12_1759
.LBB12_1764:                            ;   in Loop: Header=BB12_943 Depth=1
	s_or_b64 exec, exec, s[52:53]
	s_and_saveexec_b64 vcc, s[54:55]
	s_xor_b64 vcc, exec, vcc
	s_cbranch_execz .LBB12_1766
; %bb.1765:                             ;   in Loop: Header=BB12_943 Depth=1
	v_mov_b32_e32 v0, 1
	ds_write_b32 v0, v0
	s_trap 2
.LBB12_1766:                            ;   in Loop: Header=BB12_943 Depth=1
	s_or_b64 exec, exec, s[50:51]
	;;#ASMSTART
	s_wakeup
	;;#ASMEND
.LBB12_1767:                            ;   in Loop: Header=BB12_943 Depth=1
	s_or_b64 exec, exec, s[48:49]
.LBB12_1768:                            ;   in Loop: Header=BB12_943 Depth=1
	s_andn2_saveexec_b64 s[18:19], s[18:19]
	s_cbranch_execz .LBB12_1770
; %bb.1769:                             ;   in Loop: Header=BB12_943 Depth=1
	s_waitcnt lgkmcnt(0)
	s_barrier
.LBB12_1770:                            ;   in Loop: Header=BB12_943 Depth=1
	s_or_b64 exec, exec, s[18:19]
.LBB12_1771:                            ;   in Loop: Header=BB12_943 Depth=1
	s_or_b64 exec, exec, s[16:17]
	v_accvgpr_read_b32 v0, a15
	v_and_b32_e32 v0, 16, v0
	v_cmp_ne_u32_e32 vcc, 0, v0
	s_and_b64 s[16:17], vcc, s[14:15]
	s_and_saveexec_b64 s[14:15], s[16:17]
	s_cbranch_execz .LBB12_1773
; %bb.1772:                             ;   in Loop: Header=BB12_943 Depth=1
	buffer_wbl2 sc1
	s_waitcnt vmcnt(0) lgkmcnt(0)
	buffer_inv sc1
.LBB12_1773:                            ;   in Loop: Header=BB12_943 Depth=1
	s_or_b64 exec, exec, s[14:15]
	v_accvgpr_read_b32 v0, a15
	v_and_b32_e32 v0, 32, v0
	v_cmp_ne_u32_e32 vcc, 0, v0
	s_and_saveexec_b64 s[14:15], vcc
	s_cbranch_execz .LBB12_1775
; %bb.1774:                             ;   in Loop: Header=BB12_943 Depth=1
	v_accvgpr_read_b32 v2, a24
	v_accvgpr_read_b32 v4, a26
	;; [unrolled: 1-line block ×3, first 2 shown]
	v_lshl_add_u64 v[4:5], v[4:5], 0, 1
	v_accvgpr_read_b32 v3, a25
	v_accvgpr_write_b32 a27, v5
	v_accvgpr_write_b32 a26, v4
	;; [unrolled: 1-line block ×4, first 2 shown]
	v_accvgpr_read_b32 v2, a28
	v_accvgpr_read_b32 v3, a29
	flat_store_dwordx2 v[2:3], v[4:5] sc0 sc1
.LBB12_1775:                            ;   in Loop: Header=BB12_943 Depth=1
	s_or_b64 exec, exec, s[14:15]
	v_mov_b32_e32 v8, v40
.LBB12_1776:                            ;   in Loop: Header=BB12_943 Depth=1
	s_or_b64 exec, exec, s[46:47]
	s_and_saveexec_b64 s[16:17], s[44:45]
	s_cbranch_execz .LBB12_942
; %bb.1777:                             ;   in Loop: Header=BB12_943 Depth=1
	v_accvgpr_read_b32 v0, a15
	v_accvgpr_read_b32 v2, a24
	v_and_b32_e32 v0, 4, v0
	v_accvgpr_read_b32 v3, a25
	v_accvgpr_read_b32 v4, a26
	;; [unrolled: 1-line block ×3, first 2 shown]
	v_cmp_ne_u32_e32 vcc, 0, v0
	s_mov_b64 s[18:19], -1
	v_lshl_add_u64 v[2:3], v[4:5], 0, 1
	s_and_saveexec_b64 s[14:15], vcc
	s_cbranch_execnz .LBB12_1780
; %bb.1778:                             ;   in Loop: Header=BB12_943 Depth=1
	s_or_b64 exec, exec, s[14:15]
	s_xor_b64 s[14:15], s[18:19], -1
	s_and_saveexec_b64 s[18:19], s[14:15]
	s_cbranch_execnz .LBB12_1791
.LBB12_1779:                            ;   in Loop: Header=BB12_943 Depth=1
	s_or_b64 exec, exec, s[18:19]
	s_and_saveexec_b64 s[14:15], s[4:5]
	s_cbranch_execnz .LBB12_1800
	s_branch .LBB12_1818
.LBB12_1780:                            ;   in Loop: Header=BB12_943 Depth=1
	v_accvgpr_read_b32 v4, a24
	v_accvgpr_read_b32 v5, a25
	;; [unrolled: 1-line block ×4, first 2 shown]
	v_lshl_add_u64 v[4:5], v[6:7], 0, 1
	v_accvgpr_read_b32 v6, a34
	v_accvgpr_read_b32 v7, a35
	v_cmp_lt_u64_e32 vcc, v[6:7], v[4:5]
	v_mov_b32_e32 v0, 1
	s_and_saveexec_b64 s[18:19], vcc
	s_cbranch_execz .LBB12_1790
; %bb.1781:                             ;   in Loop: Header=BB12_943 Depth=1
	s_mov_b64 s[44:45], 0
	v_mov_b32_e32 v0, 0
                                        ; implicit-def: $sgpr46_sgpr47
	s_branch .LBB12_1785
.LBB12_1782:                            ;   in Loop: Header=BB12_1785 Depth=2
	s_or_b64 exec, exec, s[54:55]
	v_mov_b32_e32 v6, 0
	s_orn2_b64 s[52:53], s[52:53], exec
.LBB12_1783:                            ;   in Loop: Header=BB12_1785 Depth=2
	s_or_b64 exec, exec, s[50:51]
	s_andn2_b64 vcc, s[46:47], exec
	s_and_b64 s[46:47], s[52:53], exec
	s_or_b64 s[46:47], vcc, s[46:47]
	v_mov_b32_e32 v0, v6
.LBB12_1784:                            ;   in Loop: Header=BB12_1785 Depth=2
	s_or_b64 exec, exec, s[48:49]
	s_waitcnt vmcnt(0) lgkmcnt(0)
	v_accvgpr_read_b32 v6, a34
	v_accvgpr_read_b32 v7, a35
	v_cmp_ge_u64_e32 vcc, v[6:7], v[4:5]
	s_xor_b64 s[48:49], s[46:47], -1
	s_or_b64 vcc, s[48:49], vcc
	s_and_b64 vcc, exec, vcc
	s_or_b64 s[44:45], vcc, s[44:45]
	s_andn2_b64 exec, exec, s[44:45]
	s_cbranch_execz .LBB12_1789
.LBB12_1785:                            ;   Parent Loop BB12_943 Depth=1
                                        ; =>  This Inner Loop Header: Depth=2
	v_accvgpr_read_b32 v6, a28
	v_accvgpr_read_b32 v7, a29
	s_sleep 1
	flat_load_dwordx2 a[34:35], v[6:7] sc0 sc1
	v_accvgpr_read_b32 v6, a15
	v_and_b32_e32 v6, 64, v6
	v_cmp_eq_u32_e32 vcc, 0, v6
	s_andn2_b64 s[46:47], s[46:47], exec
	s_and_saveexec_b64 s[48:49], vcc
	s_cbranch_execz .LBB12_1784
; %bb.1786:                             ;   in Loop: Header=BB12_1785 Depth=2
	v_add_u32_e32 v6, 1, v0
	v_cmp_lt_i32_e32 vcc, s65, v0
	s_mov_b64 s[52:53], -1
	s_and_saveexec_b64 s[50:51], vcc
	s_cbranch_execz .LBB12_1783
; %bb.1787:                             ;   in Loop: Header=BB12_1785 Depth=2
	s_trap 2
	ds_read_b64 v[6:7], v0
	s_waitcnt vmcnt(0) lgkmcnt(0)
	flat_load_dword v0, v[6:7] sc0 sc1
	s_waitcnt vmcnt(0) lgkmcnt(0)
	buffer_inv sc0 sc1
	v_cmp_ne_u32_e32 vcc, 0, v0
	s_and_saveexec_b64 s[54:55], vcc
	s_cbranch_execz .LBB12_1782
; %bb.1788:                             ;   in Loop: Header=BB12_1785 Depth=2
	v_accvgpr_read_b32 v6, a15
	v_or_b32_e32 v6, 64, v6
	v_accvgpr_write_b32 a15, v6
	s_xor_b64 s[52:53], exec, -1
	ds_write_b32 v0, v0
	s_trap 2
	s_branch .LBB12_1782
.LBB12_1789:                            ;   in Loop: Header=BB12_943 Depth=1
	s_or_b64 exec, exec, s[44:45]
	v_accvgpr_read_b32 v0, a15
	v_and_b32_e32 v0, 4, v0
.LBB12_1790:                            ;   in Loop: Header=BB12_943 Depth=1
	s_or_b64 exec, exec, s[18:19]
	v_cmp_eq_u32_e32 vcc, 0, v0
	s_orn2_b64 s[18:19], vcc, exec
	;;#ASMSTART
	s_wakeup
	;;#ASMEND
	s_or_b64 exec, exec, s[14:15]
	s_xor_b64 s[14:15], s[18:19], -1
	s_and_saveexec_b64 s[18:19], s[14:15]
	s_cbranch_execz .LBB12_1779
.LBB12_1791:                            ;   in Loop: Header=BB12_943 Depth=1
	v_accvgpr_read_b32 v0, a15
	v_accvgpr_read_b32 v4, a24
	v_and_b32_e32 v0, 0x100, v0
	v_accvgpr_read_b32 v6, a26
	v_cmp_ne_u32_e32 vcc, 0, v0
	v_accvgpr_read_b32 v5, a25
	v_and_b32_e32 v0, 7, v6
	s_mov_b64 s[14:15], -1
                                        ; implicit-def: $vgpr4_vgpr5
	s_and_saveexec_b64 s[44:45], vcc
	s_cbranch_execz .LBB12_1795
; %bb.1792:                             ;   in Loop: Header=BB12_943 Depth=1
	v_accvgpr_read_b32 v4, a24
	v_accvgpr_read_b32 v5, a25
	v_mad_u64_u32 v[6:7], s[14:15], v0, 24, v[4:5]
	flat_load_dword v4, v[6:7]
	s_waitcnt vmcnt(0) lgkmcnt(0)
	v_cmp_ne_u32_e32 vcc, 1, v4
	v_cmp_eq_u32_e64 s[14:15], 1, v4
                                        ; implicit-def: $vgpr4_vgpr5
	s_and_saveexec_b64 s[46:47], s[14:15]
	s_cbranch_execz .LBB12_1794
; %bb.1793:                             ;   in Loop: Header=BB12_943 Depth=1
	flat_load_dword v4, v[6:7] offset:4 sc0 sc1
	s_waitcnt vmcnt(0) lgkmcnt(0)
	v_ashrrev_i32_e32 v5, 31, v4
	v_lshrrev_b64 v[4:5], 1, v[4:5]
.LBB12_1794:                            ;   in Loop: Header=BB12_943 Depth=1
	s_or_b64 exec, exec, s[46:47]
	s_orn2_b64 s[14:15], vcc, exec
.LBB12_1795:                            ;   in Loop: Header=BB12_943 Depth=1
	s_or_b64 exec, exec, s[44:45]
	s_and_saveexec_b64 vcc, s[14:15]
	s_cbranch_execz .LBB12_1797
; %bb.1796:                             ;   in Loop: Header=BB12_943 Depth=1
	scratch_load_dwordx2 v[4:5], off, s33 offset:256 ; 8-byte Folded Reload
	s_waitcnt vmcnt(0)
	v_mad_i64_i32 v[4:5], s[14:15], v0, v4, 0
.LBB12_1797:                            ;   in Loop: Header=BB12_943 Depth=1
	s_or_b64 exec, exec, vcc
	v_accvgpr_read_b32 v6, a32
	v_accvgpr_read_b32 v7, a33
	v_lshl_add_u64 v[4:5], v[4:5], 1, v[6:7]
	ds_write_b64 v0, v[4:5] offset:728
	v_accvgpr_read_b32 v0, a15
	v_and_b32_e32 v0, 0x2000, v0
	v_cmp_ne_u32_e32 vcc, 0, v0
	s_and_saveexec_b64 s[14:15], vcc
	s_cbranch_execz .LBB12_1799
; %bb.1798:                             ;   in Loop: Header=BB12_943 Depth=1
	ds_read_b64 v[4:5], v0 offset:584
	s_waitcnt lgkmcnt(0)
	v_lshl_add_u64 v[4:5], v[4:5], 0, 1
	ds_write_b64 v0, v[4:5] offset:584
.LBB12_1799:                            ;   in Loop: Header=BB12_943 Depth=1
	s_or_b64 exec, exec, s[14:15]
	v_accvgpr_write_b32 a27, v3
	v_accvgpr_write_b32 a26, v2
	s_or_b64 exec, exec, s[18:19]
	s_and_saveexec_b64 s[14:15], s[4:5]
	s_cbranch_execz .LBB12_1818
.LBB12_1800:                            ;   in Loop: Header=BB12_943 Depth=1
	s_and_saveexec_b64 s[18:19], s[28:29]
	s_xor_b64 s[18:19], exec, s[18:19]
	s_cbranch_execz .LBB12_1815
; %bb.1801:                             ;   in Loop: Header=BB12_943 Depth=1
	s_and_saveexec_b64 s[44:45], s[6:7]
	s_cbranch_execz .LBB12_1814
; %bb.1802:                             ;   in Loop: Header=BB12_943 Depth=1
	s_mov_b64 s[48:49], exec
	v_mbcnt_lo_u32_b32 v0, s48, 0
	v_mbcnt_hi_u32_b32 v0, s49, v0
	v_cmp_eq_u32_e32 vcc, 0, v0
	s_waitcnt lgkmcnt(0)
	s_and_saveexec_b64 s[46:47], vcc
	s_cbranch_execz .LBB12_1804
; %bb.1803:                             ;   in Loop: Header=BB12_943 Depth=1
	s_bcnt1_i32_b64 vcc_lo, s[48:49]
	v_mov_b32_e32 v0, vcc_lo
	ds_add_u64 v0, v[0:1]
	s_trap 2
.LBB12_1804:                            ;   in Loop: Header=BB12_943 Depth=1
	s_or_b64 exec, exec, s[46:47]
	s_trap 2
	ds_read_b64 v[2:3], v0
	v_accvgpr_read_b32 v4, a36
	v_accvgpr_read_b32 v7, a1
	;; [unrolled: 1-line block ×4, first 2 shown]
	v_lshl_add_u64 v[4:5], v[4:5], 0, v[6:7]
	v_accvgpr_write_b32 a37, v5
	v_accvgpr_write_b32 a36, v4
	s_waitcnt lgkmcnt(0)
	v_cmp_lt_u64_e32 vcc, v[2:3], v[4:5]
	s_and_saveexec_b64 s[46:47], vcc
	s_cbranch_execz .LBB12_1813
; %bb.1805:                             ;   in Loop: Header=BB12_943 Depth=1
	s_mov_b32 s58, 0
	s_mov_b64 s[48:49], 0
                                        ; implicit-def: $sgpr50_sgpr51
                                        ; implicit-def: $sgpr52_sgpr53
	s_branch .LBB12_1807
.LBB12_1806:                            ;   in Loop: Header=BB12_1807 Depth=2
	s_or_b64 exec, exec, s[56:57]
	s_and_b64 vcc, exec, vcc
	s_or_b64 s[48:49], vcc, s[48:49]
	s_andn2_b64 vcc, s[50:51], exec
	s_and_b64 s[50:51], s[52:53], exec
	s_or_b64 s[50:51], vcc, s[50:51]
	s_andn2_b64 exec, exec, s[48:49]
	s_cbranch_execz .LBB12_1811
.LBB12_1807:                            ;   Parent Loop BB12_943 Depth=1
                                        ; =>  This Inner Loop Header: Depth=2
	s_add_i32 s58, s58, 1
	s_cmpk_lg_i32 s58, 0x2710
	s_cselect_b64 s[54:55], -1, 0
	s_and_b64 vcc, exec, s[54:55]
                                        ; implicit-def: $sgpr56_sgpr57
	s_cbranch_vccnz .LBB12_1809
; %bb.1808:                             ;   in Loop: Header=BB12_1807 Depth=2
	s_trap 2
	ds_read_b64 v[2:3], v0
	s_andn2_b64 s[54:55], s[54:55], exec
	s_mov_b32 s58, 0
	s_mov_b64 s[56:57], -1
	s_waitcnt vmcnt(0) lgkmcnt(0)
	flat_load_dword v0, v[2:3] sc0 sc1
	s_waitcnt vmcnt(0) lgkmcnt(0)
	buffer_inv sc0 sc1
	v_cmp_eq_u32_e32 vcc, 0, v0
	s_and_b64 vcc, vcc, exec
	s_or_b64 s[54:55], s[54:55], vcc
.LBB12_1809:                            ;   in Loop: Header=BB12_1807 Depth=2
	s_andn2_b64 s[52:53], s[52:53], exec
	s_and_b64 s[56:57], s[56:57], exec
	s_mov_b64 vcc, -1
	s_or_b64 s[52:53], s[52:53], s[56:57]
	s_and_saveexec_b64 s[56:57], s[54:55]
	s_cbranch_execz .LBB12_1806
; %bb.1810:                             ;   in Loop: Header=BB12_1807 Depth=2
	s_sleep 1
	s_trap 2
	ds_read_b64 v[2:3], v0
	v_accvgpr_read_b32 v4, a36
	v_accvgpr_read_b32 v5, a37
	s_andn2_b64 s[52:53], s[52:53], exec
	s_waitcnt lgkmcnt(0)
	v_cmp_ge_u64_e32 vcc, v[2:3], v[4:5]
	s_orn2_b64 vcc, vcc, exec
	s_branch .LBB12_1806
.LBB12_1811:                            ;   in Loop: Header=BB12_943 Depth=1
	s_or_b64 exec, exec, s[48:49]
	s_and_saveexec_b64 vcc, s[50:51]
	s_xor_b64 vcc, exec, vcc
	s_cbranch_execz .LBB12_1813
; %bb.1812:                             ;   in Loop: Header=BB12_943 Depth=1
	v_mov_b32_e32 v0, 1
	ds_write_b32 v0, v0
	s_trap 2
.LBB12_1813:                            ;   in Loop: Header=BB12_943 Depth=1
	s_or_b64 exec, exec, s[46:47]
	;;#ASMSTART
	s_wakeup
	;;#ASMEND
.LBB12_1814:                            ;   in Loop: Header=BB12_943 Depth=1
	s_or_b64 exec, exec, s[44:45]
.LBB12_1815:                            ;   in Loop: Header=BB12_943 Depth=1
	s_andn2_saveexec_b64 s[18:19], s[18:19]
	s_cbranch_execz .LBB12_1817
; %bb.1816:                             ;   in Loop: Header=BB12_943 Depth=1
	s_waitcnt lgkmcnt(0)
	s_barrier
.LBB12_1817:                            ;   in Loop: Header=BB12_943 Depth=1
	s_or_b64 exec, exec, s[18:19]
.LBB12_1818:                            ;   in Loop: Header=BB12_943 Depth=1
	s_or_b64 exec, exec, s[14:15]
	s_trap 2
	ds_read_b32 v0, v0
	v_accvgpr_read_b32 v2, a56
	v_sub_u32_e32 v2, v2, v8
	v_min_i32_e32 v2, v40, v2
	v_cmp_lt_i32_e32 vcc, 0, v2
	s_waitcnt lgkmcnt(0)
	v_readfirstlane_b32 s14, v0
	s_cmp_eq_u32 s14, 0
	v_accvgpr_read_b32 v0, a15
	s_cselect_b64 s[14:15], -1, 0
	v_and_b32_e32 v0, 16, v0
	s_and_b64 s[14:15], vcc, s[14:15]
	v_cmp_ne_u32_e32 vcc, 0, v0
	s_and_b64 s[18:19], vcc, s[14:15]
	s_and_saveexec_b64 s[14:15], s[18:19]
	s_cbranch_execz .LBB12_1820
; %bb.1819:                             ;   in Loop: Header=BB12_943 Depth=1
	buffer_wbl2 sc1
	s_waitcnt vmcnt(0)
	buffer_inv sc1
.LBB12_1820:                            ;   in Loop: Header=BB12_943 Depth=1
	s_or_b64 exec, exec, s[14:15]
	v_accvgpr_read_b32 v0, a15
	v_and_b32_e32 v0, 32, v0
	v_cmp_ne_u32_e32 vcc, 0, v0
	s_and_saveexec_b64 s[14:15], vcc
	s_cbranch_execz .LBB12_941
; %bb.1821:                             ;   in Loop: Header=BB12_943 Depth=1
	v_accvgpr_read_b32 v2, a24
	v_accvgpr_read_b32 v4, a26
	;; [unrolled: 1-line block ×3, first 2 shown]
	v_lshl_add_u64 v[4:5], v[4:5], 0, 1
	v_accvgpr_read_b32 v3, a25
	v_accvgpr_write_b32 a27, v5
	v_accvgpr_write_b32 a26, v4
	;; [unrolled: 1-line block ×4, first 2 shown]
	v_accvgpr_read_b32 v2, a28
	v_accvgpr_read_b32 v3, a29
	flat_store_dwordx2 v[2:3], v[4:5] sc0 sc1
	s_branch .LBB12_941
.LBB12_1822:
	s_or_b64 exec, exec, s[40:41]
.LBB12_1823:
	s_or_b64 exec, exec, s[22:23]
.LBB12_1824:
	s_or_b64 exec, exec, s[20:21]
                                        ; implicit-def: $vgpr0_vgpr1
                                        ; kill: killed $vgpr0_vgpr1
                                        ; implicit-def: $agpr16_agpr17
                                        ; implicit-def: $agpr40_agpr41
                                        ; implicit-def: $agpr34_agpr35
                                        ; implicit-def: $agpr32_agpr33
                                        ; implicit-def: $agpr28_agpr29
                                        ; implicit-def: $vgpr9
                                        ; implicit-def: $agpr38_agpr39
                                        ; implicit-def: $vgpr0
	scratch_store_dwordx2 off, v[0:1], s33 offset:256 ; 8-byte Folded Spill
                                        ; implicit-def: $vgpr0
.LBB12_1825:
	s_andn2_saveexec_b64 s[18:19], s[26:27]
	s_cbranch_execz .LBB12_2027
; %bb.1826:
	v_accvgpr_read_b32 v2, a16
	v_accvgpr_read_b32 v3, a17
	v_cmp_ne_u64_e32 vcc, 0, v[2:3]
	v_mov_b64_e32 v[2:3], 0
	v_accvgpr_write_b32 a37, v3
	s_mov_b64 s[22:23], 0
	v_accvgpr_write_b32 a36, v2
	s_and_saveexec_b64 s[20:21], vcc
	s_cbranch_execz .LBB12_2026
; %bb.1827:
	scratch_load_dword v2, off, s33 offset:280 ; 4-byte Folded Reload
	s_trap 2
	scratch_load_dword v1, off, s33 offset:304 ; 4-byte Folded Reload
	s_lshr_b32 s2, s68, 27
	s_add_i32 s68, s68, s2
	s_mov_b64 s[28:29], 0x2000
	v_mov_b64_e32 v[20:21], 0
	v_mov_b32_e32 v51, 0
	s_mov_b64 s[30:31], 0x400
	s_mov_b64 s[34:35], 0x800
	;; [unrolled: 1-line block ×3, first 2 shown]
	v_accvgpr_write_b32 a37, v21
	s_ashr_i32 s62, s68, 5
	v_mov_b32_e32 v53, v51
	s_movk_i32 s63, 0x270e
	s_movk_i32 s64, 0x1000
	v_accvgpr_write_b32 a36, v20
	s_waitcnt vmcnt(0)
	v_cmp_ge_i32_e64 s[2:3], v0, v2
	v_cmp_eq_u32_e32 vcc, 64, v2
	v_cmp_ne_u32_sdwa s[26:27], v1, v2 src0_sel:WORD_0 src1_sel:DWORD
	scratch_load_dword v1, off, s33 offset:292 ; 4-byte Folded Reload
	v_cmp_ne_u32_e64 s[4:5], 64, v2
	v_lshrrev_b32_e32 v52, 6, v2
	v_lshlrev_b32_e32 v55, 10, v52
	v_lshlrev_b32_e32 v56, 7, v52
	v_add_u32_e32 v40, 0xfffffc00, v55
	v_add_u32_e32 v58, 0xffffff80, v56
	v_ashrrev_i32_e32 v41, 31, v40
	v_ashrrev_i32_e32 v59, 31, v58
	v_lshl_add_u64 v[42:43], v[40:41], 0, s[30:31]
	v_lshl_add_u64 v[60:61], v[58:59], 0, s[36:37]
	s_xor_b64 s[38:39], vcc, -1
	s_waitcnt vmcnt(0)
	v_and_b32_e32 v1, 63, v1
	v_cmp_eq_u32_e64 s[6:7], 0, v1
	v_ashrrev_i32_e32 v1, 31, v0
	v_lshrrev_b32_e32 v1, 26, v1
	v_add_u32_e32 v1, v0, v1
	v_and_b32_e32 v2, 0xffffffc0, v1
	v_sub_u32_e32 v0, v0, v2
	v_cmp_gt_i32_e64 s[10:11], 1, v0
	s_waitcnt lgkmcnt(0)
	v_cmp_lt_i32_e64 s[12:13], v0, v9
	v_ashrrev_i32_e32 v54, 6, v1
	v_accvgpr_write_b32 a22, v0
	v_lshlrev_b32_e32 v0, 4, v0
	v_lshl_add_u32 v0, v54, 13, v0
	v_ashrrev_i32_e32 v1, 31, v0
	scratch_store_dwordx2 off, v[0:1], s33 offset:264 ; 8-byte Folded Spill
	v_mov_b32_e32 v0, 0xffffe000
	v_lshl_add_u32 v0, v52, 13, v0
	v_ashrrev_i32_e32 v1, 31, v0
	v_accvgpr_write_b32 a45, v1
	v_accvgpr_write_b32 a44, v0
	v_lshl_add_u64 v[0:1], v[0:1], 0, s[28:29]
	v_accvgpr_write_b32 a47, v1
	v_accvgpr_write_b32 a46, v0
	v_accvgpr_read_b32 v0, a40
	v_accvgpr_read_b32 v1, a41
	v_cmp_ne_u64_e64 s[14:15], 0, v[0:1]
	v_mov_b32_e32 v0, 0xfffff800
	v_lshl_add_u32 v44, v52, 11, v0
	v_ashrrev_i32_e32 v45, 31, v44
	v_accvgpr_read_b32 v0, a16
	v_accvgpr_read_b32 v2, a38
	v_lshl_add_u64 v[46:47], v[44:45], 0, s[34:35]
	v_accvgpr_read_b32 v1, a17
	v_accvgpr_read_b32 v3, a39
	s_branch .LBB12_1831
.LBB12_1828:                            ;   in Loop: Header=BB12_1831 Depth=1
	s_or_b64 exec, exec, vcc
	v_accvgpr_read_b32 v0, a24
	v_accvgpr_read_b32 v2, a26
	;; [unrolled: 1-line block ×3, first 2 shown]
	v_lshl_add_u64 v[2:3], v[2:3], 0, 1
	v_accvgpr_read_b32 v1, a25
	v_accvgpr_write_b32 a27, v3
	v_accvgpr_write_b32 a26, v2
	;; [unrolled: 1-line block ×4, first 2 shown]
	v_accvgpr_read_b32 v0, a28
	v_accvgpr_read_b32 v1, a29
	flat_store_dwordx2 v[0:1], v[2:3] sc0 sc1
.LBB12_1829:                            ;   in Loop: Header=BB12_1831 Depth=1
	s_or_b64 exec, exec, s[16:17]
.LBB12_1830:                            ;   in Loop: Header=BB12_1831 Depth=1
	s_or_b64 exec, exec, s[42:43]
	v_accvgpr_read_b32 v2, a38
	v_accvgpr_read_b32 v3, a39
	;; [unrolled: 1-line block ×3, first 2 shown]
	v_lshl_add_u64 v[20:21], v[20:21], 0, v[2:3]
	v_accvgpr_read_b32 v1, a17
	v_cmp_ge_u64_e32 vcc, v[20:21], v[0:1]
	s_or_b64 s[22:23], vcc, s[22:23]
	s_andn2_b64 exec, exec, s[22:23]
	s_cbranch_execz .LBB12_2025
.LBB12_1831:                            ; =>This Loop Header: Depth=1
                                        ;     Child Loop BB12_1840 Depth 2
                                        ;     Child Loop BB12_1864 Depth 2
	;; [unrolled: 1-line block ×10, first 2 shown]
	v_sub_co_u32_e32 v0, vcc, v0, v20
	s_nop 1
	v_subb_co_u32_e32 v1, vcc, v1, v21, vcc
	v_cmp_lt_u64_e32 vcc, v[2:3], v[0:1]
	s_nop 1
	v_cndmask_b32_e64 v23, v1, 0, vcc
	v_cndmask_b32_e32 v22, v0, v2, vcc
	v_add_u32_e32 v0, 15, v22
	v_cmp_eq_u64_e32 vcc, 0, v[22:23]
	v_and_b32_e32 v0, 0x3ffffff0, v0
	s_or_b64 s[40:41], s[2:3], vcc
	v_max_i32_e32 v12, s62, v0
	s_xor_b64 s[16:17], s[40:41], -1
	v_mov_b32_e32 v0, 0
	s_and_saveexec_b64 s[42:43], s[16:17]
	s_cbranch_execz .LBB12_1978
; %bb.1832:                             ;   in Loop: Header=BB12_1831 Depth=1
	s_and_saveexec_b64 s[16:17], s[0:1]
	s_cbranch_execz .LBB12_1834
; %bb.1833:                             ;   in Loop: Header=BB12_1831 Depth=1
	s_trap 2
	scratch_load_dwordx2 v[2:3], off, s33 offset:272 ; 8-byte Folded Reload
	ds_read_b64 v[0:1], v0
	v_mov_b32_e32 v50, v51
	s_waitcnt vmcnt(0) lgkmcnt(0)
	v_lshl_add_u64 v[0:1], v[2:3], 1, v[0:1]
	v_lshl_add_u64 v[0:1], v[20:21], 1, v[0:1]
	ds_write_b64 v0, v[0:1]
	ds_write_b64 v0, v[50:51]
.LBB12_1834:                            ;   in Loop: Header=BB12_1831 Depth=1
	s_or_b64 exec, exec, s[16:17]
	v_accvgpr_read_b32 v0, a15
	v_and_b32_e32 v0, 8, v0
	v_cmp_ne_u32_e32 vcc, 0, v0
	v_accvgpr_read_b32 v0, a24
	v_accvgpr_read_b32 v2, a26
	v_accvgpr_read_b32 v3, a27
	s_mov_b64 s[44:45], -1
	v_lshl_add_u64 v[2:3], v[2:3], 0, 1
	v_accvgpr_read_b32 v1, a25
	s_and_saveexec_b64 s[16:17], vcc
	s_cbranch_execz .LBB12_1846
; %bb.1835:                             ;   in Loop: Header=BB12_1831 Depth=1
	v_accvgpr_read_b32 v0, a34
	v_accvgpr_read_b32 v4, a24
	;; [unrolled: 1-line block ×6, first 2 shown]
	v_lshl_add_u64 v[0:1], v[0:1], 0, 8
	v_lshl_add_u64 v[4:5], v[6:7], 0, 1
	v_cmp_lt_u64_e32 vcc, v[0:1], v[4:5]
	v_mov_b32_e32 v0, 1
	s_and_saveexec_b64 s[44:45], vcc
	s_cbranch_execz .LBB12_1845
; %bb.1836:                             ;   in Loop: Header=BB12_1831 Depth=1
	s_mov_b64 s[46:47], 0
	v_mov_b32_e32 v0, 0
                                        ; implicit-def: $sgpr48_sgpr49
	s_branch .LBB12_1840
.LBB12_1837:                            ;   in Loop: Header=BB12_1840 Depth=2
	s_or_b64 exec, exec, s[56:57]
	v_mov_b32_e32 v1, 0
	s_orn2_b64 s[54:55], s[54:55], exec
.LBB12_1838:                            ;   in Loop: Header=BB12_1840 Depth=2
	s_or_b64 exec, exec, s[52:53]
	s_andn2_b64 vcc, s[48:49], exec
	s_and_b64 s[48:49], s[54:55], exec
	s_or_b64 s[48:49], vcc, s[48:49]
	v_mov_b32_e32 v0, v1
.LBB12_1839:                            ;   in Loop: Header=BB12_1840 Depth=2
	s_or_b64 exec, exec, s[50:51]
	s_waitcnt vmcnt(0) lgkmcnt(0)
	v_accvgpr_read_b32 v6, a34
	v_accvgpr_read_b32 v7, a35
	v_lshl_add_u64 v[6:7], v[6:7], 0, 8
	v_cmp_ge_u64_e32 vcc, v[6:7], v[4:5]
	s_xor_b64 s[50:51], s[48:49], -1
	s_or_b64 vcc, s[50:51], vcc
	s_and_b64 vcc, exec, vcc
	s_or_b64 s[46:47], vcc, s[46:47]
	s_andn2_b64 exec, exec, s[46:47]
	s_cbranch_execz .LBB12_1844
.LBB12_1840:                            ;   Parent Loop BB12_1831 Depth=1
                                        ; =>  This Inner Loop Header: Depth=2
	v_accvgpr_read_b32 v6, a28
	v_accvgpr_read_b32 v7, a29
	s_sleep 1
	flat_load_dwordx2 a[34:35], v[6:7] sc0 sc1
	v_accvgpr_read_b32 v1, a15
	v_and_b32_e32 v1, 64, v1
	v_cmp_eq_u32_e32 vcc, 0, v1
	s_andn2_b64 s[48:49], s[48:49], exec
	s_and_saveexec_b64 s[50:51], vcc
	s_cbranch_execz .LBB12_1839
; %bb.1841:                             ;   in Loop: Header=BB12_1840 Depth=2
	v_add_u32_e32 v1, 1, v0
	v_cmp_lt_i32_e32 vcc, s63, v0
	s_mov_b64 s[54:55], -1
	s_and_saveexec_b64 s[52:53], vcc
	s_cbranch_execz .LBB12_1838
; %bb.1842:                             ;   in Loop: Header=BB12_1840 Depth=2
	s_trap 2
	ds_read_b64 v[0:1], v0
	s_waitcnt vmcnt(0) lgkmcnt(0)
	flat_load_dword v0, v[0:1] sc0 sc1
	s_waitcnt vmcnt(0) lgkmcnt(0)
	buffer_inv sc0 sc1
	v_cmp_ne_u32_e32 vcc, 0, v0
	s_and_saveexec_b64 s[56:57], vcc
	s_cbranch_execz .LBB12_1837
; %bb.1843:                             ;   in Loop: Header=BB12_1840 Depth=2
	v_accvgpr_read_b32 v1, a15
	v_or_b32_e32 v1, 64, v1
	v_accvgpr_write_b32 a15, v1
	s_xor_b64 s[54:55], exec, -1
	ds_write_b32 v0, v0
	s_trap 2
	s_branch .LBB12_1837
.LBB12_1844:                            ;   in Loop: Header=BB12_1831 Depth=1
	s_or_b64 exec, exec, s[46:47]
	v_accvgpr_read_b32 v0, a15
	v_and_b32_e32 v0, 8, v0
.LBB12_1845:                            ;   in Loop: Header=BB12_1831 Depth=1
	s_or_b64 exec, exec, s[44:45]
	v_cmp_eq_u32_e32 vcc, 0, v0
	s_orn2_b64 s[44:45], vcc, exec
	;;#ASMSTART
	s_wakeup
	;;#ASMEND
.LBB12_1846:                            ;   in Loop: Header=BB12_1831 Depth=1
	s_or_b64 exec, exec, s[16:17]
	s_xor_b64 s[16:17], s[44:45], -1
	v_min_u32_e32 v12, v12, v22
	s_and_saveexec_b64 s[44:45], s[16:17]
	s_cbranch_execz .LBB12_1856
; %bb.1847:                             ;   in Loop: Header=BB12_1831 Depth=1
	v_accvgpr_read_b32 v0, a15
	v_accvgpr_read_b32 v4, a24
	v_and_b32_e32 v0, 0x100, v0
	v_accvgpr_read_b32 v6, a26
	v_cmp_ne_u32_e32 vcc, 0, v0
	v_and_b32_e32 v6, 7, v6
	s_mov_b64 s[16:17], -1
	v_accvgpr_read_b32 v5, a25
                                        ; implicit-def: $vgpr0_vgpr1
	s_and_saveexec_b64 s[46:47], vcc
	s_cbranch_execz .LBB12_1851
; %bb.1848:                             ;   in Loop: Header=BB12_1831 Depth=1
	v_accvgpr_read_b32 v0, a24
	v_accvgpr_read_b32 v1, a25
	v_mad_u64_u32 v[4:5], s[16:17], v6, 24, v[0:1]
	flat_load_dword v0, v[4:5]
	v_lshlrev_b32_e32 v50, 1, v12
	flat_store_dwordx2 v[4:5], v[50:51] offset:8
	s_waitcnt vmcnt(0) lgkmcnt(0)
	v_cmp_ne_u32_e32 vcc, 1, v0
	v_cmp_eq_u32_e64 s[16:17], 1, v0
                                        ; implicit-def: $vgpr0_vgpr1
	s_and_saveexec_b64 s[48:49], s[16:17]
	s_cbranch_execz .LBB12_1850
; %bb.1849:                             ;   in Loop: Header=BB12_1831 Depth=1
	flat_load_dword v0, v[4:5] offset:4 sc0 sc1
	s_waitcnt vmcnt(0) lgkmcnt(0)
	v_ashrrev_i32_e32 v1, 31, v0
	v_lshrrev_b64 v[0:1], 1, v[0:1]
.LBB12_1850:                            ;   in Loop: Header=BB12_1831 Depth=1
	s_or_b64 exec, exec, s[48:49]
	s_orn2_b64 s[16:17], vcc, exec
.LBB12_1851:                            ;   in Loop: Header=BB12_1831 Depth=1
	s_or_b64 exec, exec, s[46:47]
	s_and_saveexec_b64 vcc, s[16:17]
	s_cbranch_execz .LBB12_1853
; %bb.1852:                             ;   in Loop: Header=BB12_1831 Depth=1
	scratch_load_dwordx2 v[0:1], off, s33 offset:256 ; 8-byte Folded Reload
	s_waitcnt vmcnt(0)
	v_mad_i64_i32 v[0:1], s[16:17], v6, v0, 0
.LBB12_1853:                            ;   in Loop: Header=BB12_1831 Depth=1
	s_or_b64 exec, exec, vcc
	v_accvgpr_read_b32 v4, a32
	v_accvgpr_read_b32 v5, a33
	v_lshl_add_u64 v[0:1], v[0:1], 1, v[4:5]
	ds_write_b64 v0, v[0:1] offset:784
	v_accvgpr_read_b32 v0, a15
	v_and_b32_e32 v0, 0x2000, v0
	v_cmp_ne_u32_e32 vcc, 0, v0
	s_and_saveexec_b64 s[16:17], vcc
	s_cbranch_execz .LBB12_1855
; %bb.1854:                             ;   in Loop: Header=BB12_1831 Depth=1
	ds_read_b64 v[0:1], v0 offset:584
	s_waitcnt lgkmcnt(0)
	v_lshl_add_u64 v[0:1], v[0:1], 0, 1
	ds_write_b64 v0, v[0:1] offset:584
.LBB12_1855:                            ;   in Loop: Header=BB12_1831 Depth=1
	s_or_b64 exec, exec, s[16:17]
	v_accvgpr_write_b32 a27, v3
	v_accvgpr_write_b32 a26, v2
.LBB12_1856:                            ;   in Loop: Header=BB12_1831 Depth=1
	s_or_b64 exec, exec, s[44:45]
	s_and_saveexec_b64 s[16:17], s[4:5]
	s_cbranch_execz .LBB12_1875
; %bb.1857:                             ;   in Loop: Header=BB12_1831 Depth=1
	s_and_saveexec_b64 vcc, s[26:27]
	s_xor_b64 s[44:45], exec, vcc
	s_cbranch_execz .LBB12_1872
; %bb.1858:                             ;   in Loop: Header=BB12_1831 Depth=1
	s_and_saveexec_b64 s[46:47], s[6:7]
	s_cbranch_execz .LBB12_1871
; %bb.1859:                             ;   in Loop: Header=BB12_1831 Depth=1
	s_mov_b64 s[50:51], exec
	v_mbcnt_lo_u32_b32 v0, s50, 0
	v_mbcnt_hi_u32_b32 v0, s51, v0
	v_cmp_eq_u32_e32 vcc, 0, v0
	s_waitcnt lgkmcnt(0)
	s_and_saveexec_b64 s[48:49], vcc
	s_cbranch_execz .LBB12_1861
; %bb.1860:                             ;   in Loop: Header=BB12_1831 Depth=1
	s_bcnt1_i32_b64 vcc_lo, s[50:51]
	v_mov_b32_e32 v50, vcc_lo
	ds_add_u64 v0, v[50:51]
	s_trap 2
.LBB12_1861:                            ;   in Loop: Header=BB12_1831 Depth=1
	s_or_b64 exec, exec, s[48:49]
	s_trap 2
	ds_read_b64 v[0:1], v0
	v_accvgpr_read_b32 v2, a36
	v_accvgpr_read_b32 v3, a37
	v_lshl_add_u64 v[2:3], v[2:3], 0, v[52:53]
	v_accvgpr_write_b32 a37, v3
	v_accvgpr_write_b32 a36, v2
	s_waitcnt lgkmcnt(0)
	v_cmp_lt_u64_e32 vcc, v[0:1], v[2:3]
	s_and_saveexec_b64 s[48:49], vcc
	s_cbranch_execz .LBB12_1870
; %bb.1862:                             ;   in Loop: Header=BB12_1831 Depth=1
	s_mov_b32 s60, 0
	s_mov_b64 s[50:51], 0
                                        ; implicit-def: $sgpr52_sgpr53
                                        ; implicit-def: $sgpr54_sgpr55
	s_branch .LBB12_1864
.LBB12_1863:                            ;   in Loop: Header=BB12_1864 Depth=2
	s_or_b64 exec, exec, s[58:59]
	s_and_b64 vcc, exec, vcc
	s_or_b64 s[50:51], vcc, s[50:51]
	s_andn2_b64 vcc, s[52:53], exec
	s_and_b64 s[52:53], s[54:55], exec
	s_or_b64 s[52:53], vcc, s[52:53]
	s_andn2_b64 exec, exec, s[50:51]
	s_cbranch_execz .LBB12_1868
.LBB12_1864:                            ;   Parent Loop BB12_1831 Depth=1
                                        ; =>  This Inner Loop Header: Depth=2
	s_add_i32 s60, s60, 1
	s_cmpk_lg_i32 s60, 0x2710
	s_cselect_b64 s[56:57], -1, 0
	s_and_b64 vcc, exec, s[56:57]
                                        ; implicit-def: $sgpr58_sgpr59
	s_cbranch_vccnz .LBB12_1866
; %bb.1865:                             ;   in Loop: Header=BB12_1864 Depth=2
	s_trap 2
	ds_read_b64 v[0:1], v0
	s_andn2_b64 s[56:57], s[56:57], exec
	s_mov_b32 s60, 0
	s_mov_b64 s[58:59], -1
	s_waitcnt vmcnt(0) lgkmcnt(0)
	flat_load_dword v0, v[0:1] sc0 sc1
	s_waitcnt vmcnt(0) lgkmcnt(0)
	buffer_inv sc0 sc1
	v_cmp_eq_u32_e32 vcc, 0, v0
	s_and_b64 vcc, vcc, exec
	s_or_b64 s[56:57], s[56:57], vcc
.LBB12_1866:                            ;   in Loop: Header=BB12_1864 Depth=2
	s_andn2_b64 s[54:55], s[54:55], exec
	s_and_b64 s[58:59], s[58:59], exec
	s_mov_b64 vcc, -1
	s_or_b64 s[54:55], s[54:55], s[58:59]
	s_and_saveexec_b64 s[58:59], s[56:57]
	s_cbranch_execz .LBB12_1863
; %bb.1867:                             ;   in Loop: Header=BB12_1864 Depth=2
	s_sleep 1
	s_trap 2
	ds_read_b64 v[0:1], v0
	v_accvgpr_read_b32 v2, a36
	v_accvgpr_read_b32 v3, a37
	s_andn2_b64 s[54:55], s[54:55], exec
	s_waitcnt lgkmcnt(0)
	v_cmp_ge_u64_e32 vcc, v[0:1], v[2:3]
	s_orn2_b64 vcc, vcc, exec
	s_branch .LBB12_1863
.LBB12_1868:                            ;   in Loop: Header=BB12_1831 Depth=1
	s_or_b64 exec, exec, s[50:51]
	s_and_saveexec_b64 vcc, s[52:53]
	s_xor_b64 vcc, exec, vcc
	s_cbranch_execz .LBB12_1870
; %bb.1869:                             ;   in Loop: Header=BB12_1831 Depth=1
	v_mov_b32_e32 v0, 1
	ds_write_b32 v0, v0
	s_trap 2
.LBB12_1870:                            ;   in Loop: Header=BB12_1831 Depth=1
	s_or_b64 exec, exec, s[48:49]
	;;#ASMSTART
	s_wakeup
	;;#ASMEND
.LBB12_1871:                            ;   in Loop: Header=BB12_1831 Depth=1
	s_or_b64 exec, exec, s[46:47]
.LBB12_1872:                            ;   in Loop: Header=BB12_1831 Depth=1
	s_andn2_saveexec_b64 vcc, s[44:45]
	s_cbranch_execz .LBB12_1874
; %bb.1873:                             ;   in Loop: Header=BB12_1831 Depth=1
	s_waitcnt lgkmcnt(0)
	s_barrier
.LBB12_1874:                            ;   in Loop: Header=BB12_1831 Depth=1
	s_or_b64 exec, exec, vcc
.LBB12_1875:                            ;   in Loop: Header=BB12_1831 Depth=1
	s_or_b64 exec, exec, s[16:17]
	s_trap 2
	ds_read_b32 v0, v0
	v_accvgpr_read_b32 v1, a15
	v_and_b32_e32 v1, 0x4000, v1
	v_cmp_ne_u32_e32 vcc, 0, v1
	s_and_b64 vcc, s[38:39], vcc
	s_and_saveexec_b64 s[16:17], vcc
	s_cbranch_execz .LBB12_1894
; %bb.1876:                             ;   in Loop: Header=BB12_1831 Depth=1
	s_and_saveexec_b64 vcc, s[26:27]
	s_xor_b64 s[44:45], exec, vcc
	s_cbranch_execz .LBB12_1891
; %bb.1877:                             ;   in Loop: Header=BB12_1831 Depth=1
	s_and_saveexec_b64 s[46:47], s[6:7]
	s_cbranch_execz .LBB12_1890
; %bb.1878:                             ;   in Loop: Header=BB12_1831 Depth=1
	s_mov_b64 s[50:51], exec
	v_mbcnt_lo_u32_b32 v1, s50, 0
	v_mbcnt_hi_u32_b32 v1, s51, v1
	v_cmp_eq_u32_e32 vcc, 0, v1
	s_waitcnt lgkmcnt(0)
	s_and_saveexec_b64 s[48:49], vcc
	s_cbranch_execz .LBB12_1880
; %bb.1879:                             ;   in Loop: Header=BB12_1831 Depth=1
	s_bcnt1_i32_b64 vcc_lo, s[50:51]
	v_mov_b32_e32 v50, vcc_lo
	ds_add_u64 v0, v[50:51]
	s_trap 2
.LBB12_1880:                            ;   in Loop: Header=BB12_1831 Depth=1
	s_or_b64 exec, exec, s[48:49]
	s_trap 2
	ds_read_b64 v[2:3], v0
	v_accvgpr_read_b32 v4, a36
	v_accvgpr_read_b32 v5, a37
	v_lshl_add_u64 v[4:5], v[4:5], 0, v[52:53]
	v_accvgpr_write_b32 a37, v5
	v_accvgpr_write_b32 a36, v4
	s_waitcnt lgkmcnt(0)
	v_cmp_lt_u64_e32 vcc, v[2:3], v[4:5]
	s_and_saveexec_b64 s[48:49], vcc
	s_cbranch_execz .LBB12_1889
; %bb.1881:                             ;   in Loop: Header=BB12_1831 Depth=1
	s_mov_b32 s60, 0
	s_mov_b64 s[50:51], 0
                                        ; implicit-def: $sgpr52_sgpr53
                                        ; implicit-def: $sgpr54_sgpr55
	s_branch .LBB12_1883
.LBB12_1882:                            ;   in Loop: Header=BB12_1883 Depth=2
	s_or_b64 exec, exec, s[58:59]
	s_and_b64 vcc, exec, vcc
	s_or_b64 s[50:51], vcc, s[50:51]
	s_andn2_b64 vcc, s[52:53], exec
	s_and_b64 s[52:53], s[54:55], exec
	s_or_b64 s[52:53], vcc, s[52:53]
	s_andn2_b64 exec, exec, s[50:51]
	s_cbranch_execz .LBB12_1887
.LBB12_1883:                            ;   Parent Loop BB12_1831 Depth=1
                                        ; =>  This Inner Loop Header: Depth=2
	s_add_i32 s60, s60, 1
	s_cmpk_lg_i32 s60, 0x2710
	s_cselect_b64 s[56:57], -1, 0
	s_and_b64 vcc, exec, s[56:57]
                                        ; implicit-def: $sgpr58_sgpr59
	s_cbranch_vccnz .LBB12_1885
; %bb.1884:                             ;   in Loop: Header=BB12_1883 Depth=2
	s_trap 2
	ds_read_b64 v[2:3], v0
	s_andn2_b64 s[56:57], s[56:57], exec
	s_mov_b32 s60, 0
	s_mov_b64 s[58:59], -1
	s_waitcnt vmcnt(0) lgkmcnt(0)
	flat_load_dword v1, v[2:3] sc0 sc1
	s_waitcnt vmcnt(0) lgkmcnt(0)
	buffer_inv sc0 sc1
	v_cmp_eq_u32_e32 vcc, 0, v1
	s_and_b64 vcc, vcc, exec
	s_or_b64 s[56:57], s[56:57], vcc
.LBB12_1885:                            ;   in Loop: Header=BB12_1883 Depth=2
	s_andn2_b64 s[54:55], s[54:55], exec
	s_and_b64 s[58:59], s[58:59], exec
	s_mov_b64 vcc, -1
	s_or_b64 s[54:55], s[54:55], s[58:59]
	s_and_saveexec_b64 s[58:59], s[56:57]
	s_cbranch_execz .LBB12_1882
; %bb.1886:                             ;   in Loop: Header=BB12_1883 Depth=2
	s_sleep 1
	s_trap 2
	ds_read_b64 v[2:3], v0
	v_accvgpr_read_b32 v4, a36
	v_accvgpr_read_b32 v5, a37
	s_andn2_b64 s[54:55], s[54:55], exec
	s_waitcnt lgkmcnt(0)
	v_cmp_ge_u64_e32 vcc, v[2:3], v[4:5]
	s_orn2_b64 vcc, vcc, exec
	s_branch .LBB12_1882
.LBB12_1887:                            ;   in Loop: Header=BB12_1831 Depth=1
	s_or_b64 exec, exec, s[50:51]
	s_and_saveexec_b64 vcc, s[52:53]
	s_xor_b64 vcc, exec, vcc
	s_cbranch_execz .LBB12_1889
; %bb.1888:                             ;   in Loop: Header=BB12_1831 Depth=1
	v_mov_b32_e32 v1, 1
	ds_write_b32 v0, v1
	s_trap 2
.LBB12_1889:                            ;   in Loop: Header=BB12_1831 Depth=1
	s_or_b64 exec, exec, s[48:49]
	;;#ASMSTART
	s_wakeup
	;;#ASMEND
.LBB12_1890:                            ;   in Loop: Header=BB12_1831 Depth=1
	s_or_b64 exec, exec, s[46:47]
.LBB12_1891:                            ;   in Loop: Header=BB12_1831 Depth=1
	s_andn2_saveexec_b64 vcc, s[44:45]
	s_cbranch_execz .LBB12_1893
; %bb.1892:                             ;   in Loop: Header=BB12_1831 Depth=1
	s_waitcnt lgkmcnt(0)
	s_barrier
.LBB12_1893:                            ;   in Loop: Header=BB12_1831 Depth=1
	s_or_b64 exec, exec, vcc
.LBB12_1894:                            ;   in Loop: Header=BB12_1831 Depth=1
	s_or_b64 exec, exec, s[16:17]
	s_trap 2
	s_waitcnt lgkmcnt(0)
	ds_read_b64 v[2:3], v0
	s_waitcnt lgkmcnt(0)
	v_readfirstlane_b32 s16, v2
	v_readfirstlane_b32 s17, v3
	s_cmp_eq_u64 s[16:17], 0
	s_cselect_b64 s[16:17], -1, 0
	s_or_b64 vcc, s[16:17], s[16:17]
	s_mov_b64 s[16:17], 0
	s_and_b64 vcc, exec, vcc
	s_cbranch_vccnz .LBB12_1952
; %bb.1895:                             ;   in Loop: Header=BB12_1831 Depth=1
	s_mov_b64 s[16:17], -1
	s_and_saveexec_b64 s[44:45], s[10:11]
	s_cbranch_execz .LBB12_1897
; %bb.1896:                             ;   in Loop: Header=BB12_1831 Depth=1
	ds_read_b32 v1, v0 offset:720
	s_waitcnt lgkmcnt(0)
	v_and_b32_e32 v1, 15, v1
	v_cmp_eq_u32_e32 vcc, 0, v1
	s_orn2_b64 s[16:17], vcc, exec
.LBB12_1897:                            ;   in Loop: Header=BB12_1831 Depth=1
	s_or_b64 exec, exec, s[44:45]
	s_and_saveexec_b64 s[44:45], s[12:13]
	s_cbranch_execz .LBB12_1899
; %bb.1898:                             ;   in Loop: Header=BB12_1831 Depth=1
	ds_read_b32 v1, v0 offset:784
	s_waitcnt lgkmcnt(0)
	v_and_b32_e32 v1, 15, v1
	v_cmp_eq_u32_e32 vcc, 0, v1
	s_and_b64 vcc, s[16:17], vcc
	s_andn2_b64 s[16:17], s[16:17], exec
	s_and_b64 vcc, vcc, exec
	s_or_b64 s[16:17], s[16:17], vcc
.LBB12_1899:                            ;   in Loop: Header=BB12_1831 Depth=1
	s_or_b64 exec, exec, s[44:45]
	s_xor_b64 s[16:17], s[16:17], -1
	v_cmp_eq_u32_e32 vcc, 0, v0
	v_cndmask_b32_e64 v0, 0, 1, s[16:17]
	;;#ASMSTART
	;;#ASMEND
	s_trap 2
	ds_read_b64 v[24:25], v0
	v_cndmask_b32_e32 v1, 0, v12, vcc
	v_lshlrev_b32_e32 v4, 1, v1
	s_mov_b64 s[16:17], -1
	v_cmp_ne_u32_e32 vcc, 0, v0
	s_cbranch_vccz .LBB12_1908
; %bb.1900:                             ;   in Loop: Header=BB12_1831 Depth=1
	s_mov_b64 s[44:45], -1
	s_mov_b32 s46, 0
	s_cbranch_execnz .LBB12_1909
.LBB12_1901:                            ;   in Loop: Header=BB12_1831 Depth=1
	scratch_load_dwordx2 v[2:3], off, s33 offset:264 ; 8-byte Folded Reload
	v_accvgpr_write_b32 a30, v1
	v_lshrrev_b32_e32 v1, 12, v1
	v_accvgpr_write_b32 a63, v21
	v_accvgpr_write_b32 a60, v60
	;; [unrolled: 1-line block ×8, first 2 shown]
	v_sub_u32_e32 v0, v1, v54
	s_waitcnt lgkmcnt(0)
	v_accvgpr_write_b32 a18, v24
	v_accvgpr_write_b32 a49, v12
	;; [unrolled: 1-line block ×16, first 2 shown]
	v_cmp_lt_i32_e32 vcc, 0, v0
	s_mov_b64 s[46:47], 0
                                        ; implicit-def: $agpr0_agpr1
                                        ; implicit-def: $agpr4_agpr5
                                        ; implicit-def: $agpr8_agpr9
                                        ; implicit-def: $vgpr14_vgpr15
                                        ; implicit-def: $vgpr18_vgpr19
                                        ; implicit-def: $vgpr22_vgpr23
                                        ; implicit-def: $vgpr26_vgpr27
                                        ; implicit-def: $vgpr32_vgpr33
	s_waitcnt vmcnt(0)
	v_lshl_add_u64 v[60:61], v[24:25], 0, v[2:3]
	s_and_saveexec_b64 s[16:17], vcc
	s_cbranch_execz .LBB12_1911
; %bb.1902:                             ;   in Loop: Header=BB12_1831 Depth=1
	v_accvgpr_write_b32 a13, v4
	s_trap 2
	scratch_load_dwordx2 v[4:5], off, s33 offset:264 ; 8-byte Folded Reload
	ds_read_b64 v[2:3], v0
	v_accvgpr_write_b32 a42, v1
	s_mov_b64 s[50:51], 0
                                        ; implicit-def: $sgpr48_sgpr49
                                        ; implicit-def: $agpr0_agpr1
                                        ; implicit-def: $agpr4_agpr5
                                        ; implicit-def: $agpr8_agpr9
                                        ; implicit-def: $vgpr14_vgpr15
                                        ; implicit-def: $vgpr18_vgpr19
                                        ; implicit-def: $vgpr22_vgpr23
                                        ; implicit-def: $vgpr26_vgpr27
                                        ; implicit-def: $vgpr32_vgpr33
	s_waitcnt vmcnt(0) lgkmcnt(0)
	v_lshl_add_u64 v[30:31], v[2:3], 0, v[4:5]
	s_branch .LBB12_1904
.LBB12_1903:                            ;   in Loop: Header=BB12_1904 Depth=2
	s_or_b64 exec, exec, s[52:53]
	v_add_co_u32_e32 v12, vcc, s64, v60
	s_waitcnt vmcnt(7)
	global_store_dwordx4 v[60:61], v[36:39], off nt
	s_waitcnt vmcnt(7)
	global_store_dwordx4 v[60:61], v[48:51], off offset:1024 nt
	s_waitcnt vmcnt(7)
	global_store_dwordx4 v[60:61], v[52:55], off offset:2048 nt
	;; [unrolled: 2-line block ×3, first 2 shown]
	v_addc_co_u32_e32 v13, vcc, 0, v61, vcc
	s_waitcnt vmcnt(7)
	global_store_dwordx4 v[12:13], v[44:47], off nt
	s_waitcnt vmcnt(7)
	global_store_dwordx4 v[12:13], v[56:59], off offset:1024 nt
	s_waitcnt vmcnt(7)
	global_store_dwordx4 v[12:13], v[2:5], off offset:2048 nt
	;; [unrolled: 2-line block ×3, first 2 shown]
	v_lshl_add_u64 v[30:31], v[30:31], 0, v[0:1]
	v_lshl_add_u64 v[2:3], v[60:61], 0, v[0:1]
	v_sub_u32_e32 v0, v62, v10
	v_cmp_gt_i32_e32 vcc, 1, v0
	s_or_b64 s[46:47], vcc, s[46:47]
	s_andn2_b64 vcc, s[48:49], exec
	s_and_b64 s[48:49], s[50:51], exec
	v_lshl_add_u64 v[60:61], v[2:3], 0, s[28:29]
	s_or_b64 s[48:49], vcc, s[48:49]
	s_andn2_b64 exec, exec, s[46:47]
	s_cbranch_execz .LBB12_1910
.LBB12_1904:                            ;   Parent Loop BB12_1831 Depth=1
                                        ; =>  This Inner Loop Header: Depth=2
	v_add_co_u32_e32 v6, vcc, 0x1000, v30
	global_load_dwordx4 v[36:39], v[30:31], off nt
	global_load_dwordx4 v[48:51], v[30:31], off offset:1024 nt
	global_load_dwordx4 v[52:55], v[30:31], off offset:2048 nt
	;; [unrolled: 1-line block ×3, first 2 shown]
	v_addc_co_u32_e32 v7, vcc, 0, v31, vcc
	global_load_dwordx4 v[44:47], v[6:7], off nt
	global_load_dwordx4 v[56:59], v[6:7], off offset:1024 nt
	global_load_dwordx4 v[2:5], v[6:7], off offset:2048 nt
	s_nop 0
	global_load_dwordx4 v[6:9], v[6:7], off offset:3072 nt
	s_and_saveexec_b64 s[52:53], s[50:51]
	s_cbranch_execz .LBB12_1906
; %bb.1905:                             ;   in Loop: Header=BB12_1904 Depth=2
	v_add_co_u32_e32 v10, vcc, s64, v60
	global_store_dwordx4 v[60:61], a[0:3], off nt
	global_store_dwordx4 v[60:61], a[4:7], off offset:1024 nt
	global_store_dwordx4 v[60:61], a[8:11], off offset:2048 nt
	;; [unrolled: 1-line block ×3, first 2 shown]
	v_addc_co_u32_e32 v11, vcc, 0, v61, vcc
	global_store_dwordx4 v[10:11], v[18:21], off nt
	global_store_dwordx4 v[10:11], v[22:25], off offset:1024 nt
	global_store_dwordx4 v[10:11], v[26:29], off offset:2048 nt
	;; [unrolled: 1-line block ×3, first 2 shown]
	v_accvgpr_read_b32 v10, a46
	v_accvgpr_read_b32 v11, a47
	v_lshl_add_u64 v[60:61], v[60:61], 0, v[10:11]
.LBB12_1906:                            ;   in Loop: Header=BB12_1904 Depth=2
	s_or_b64 exec, exec, s[52:53]
	v_accvgpr_read_b32 v10, a46
	v_accvgpr_read_b32 v11, a47
	v_lshl_add_u64 v[30:31], v[30:31], 0, v[10:11]
	v_accvgpr_read_b32 v10, a20
	v_sub_u32_e32 v62, v0, v10
	v_cmp_lt_i32_e64 s[50:51], 0, v62
	v_mov_b32_e32 v10, 0
	v_mov_b64_e32 v[0:1], 0
	v_accvgpr_read_b32 v11, a21
	s_and_saveexec_b64 s[52:53], s[50:51]
	s_cbranch_execz .LBB12_1903
; %bb.1907:                             ;   in Loop: Header=BB12_1904 Depth=2
	v_add_co_u32_e32 v0, vcc, s64, v30
	global_load_dwordx4 a[0:3], v[30:31], off nt
	global_load_dwordx4 a[4:7], v[30:31], off offset:1024 nt
	global_load_dwordx4 a[8:11], v[30:31], off offset:2048 nt
	;; [unrolled: 1-line block ×3, first 2 shown]
	v_addc_co_u32_e32 v1, vcc, 0, v31, vcc
	global_load_dwordx4 v[18:21], v[0:1], off nt
	global_load_dwordx4 v[22:25], v[0:1], off offset:1024 nt
	global_load_dwordx4 v[26:29], v[0:1], off offset:2048 nt
	;; [unrolled: 1-line block ×3, first 2 shown]
	v_accvgpr_read_b32 v0, a20
	v_accvgpr_read_b32 v1, a21
	v_mov_b32_e32 v10, v0
	v_accvgpr_read_b32 v0, a44
	v_lshl_add_u64 v[30:31], v[30:31], 0, s[28:29]
	v_accvgpr_read_b32 v1, a45
	s_branch .LBB12_1903
.LBB12_1908:                            ;   in Loop: Header=BB12_1831 Depth=1
	s_mov_b64 s[44:45], 0
                                        ; implicit-def: $sgpr46
	s_andn2_b64 vcc, exec, s[16:17]
	s_cbranch_vccz .LBB12_1901
.LBB12_1909:                            ;   in Loop: Header=BB12_1831 Depth=1
	v_mov_b32_e32 v8, s46
	v_accvgpr_write_b32 a30, v1
	v_accvgpr_read_b32 v9, a22
	v_mov_b32_e32 v1, v54
	s_and_saveexec_b64 s[16:17], s[44:45]
	s_cbranch_execnz .LBB12_1930
	s_branch .LBB12_1951
.LBB12_1910:                            ;   in Loop: Header=BB12_1831 Depth=1
	s_or_b64 exec, exec, s[46:47]
	s_and_b64 s[46:47], s[48:49], exec
	v_accvgpr_read_b32 v4, a13
	v_accvgpr_read_b32 v1, a42
.LBB12_1911:                            ;   in Loop: Header=BB12_1831 Depth=1
	s_or_b64 exec, exec, s[16:17]
	s_and_saveexec_b64 s[16:17], s[46:47]
	s_cbranch_execz .LBB12_1913
; %bb.1912:                             ;   in Loop: Header=BB12_1831 Depth=1
	v_add_co_u32_e32 v2, vcc, s64, v60
	global_store_dwordx4 v[60:61], a[0:3], off nt
	global_store_dwordx4 v[60:61], a[4:7], off offset:1024 nt
	global_store_dwordx4 v[60:61], a[8:11], off offset:2048 nt
	;; [unrolled: 1-line block ×3, first 2 shown]
	v_addc_co_u32_e32 v3, vcc, 0, v61, vcc
	global_store_dwordx4 v[2:3], v[18:21], off nt
	global_store_dwordx4 v[2:3], v[22:25], off offset:1024 nt
	global_store_dwordx4 v[2:3], v[26:29], off offset:2048 nt
	;; [unrolled: 1-line block ×3, first 2 shown]
.LBB12_1913:                            ;   in Loop: Header=BB12_1831 Depth=1
	s_or_b64 exec, exec, s[16:17]
	v_lshlrev_b32_e32 v14, 13, v1
	v_cmp_ne_u32_e32 vcc, v4, v14
                                        ; implicit-def: $vgpr8
                                        ; implicit-def: $vgpr9
                                        ; implicit-def: $vgpr1
	s_mov_b64 s[46:47], exec
	v_accvgpr_read_b32 v53, a21
	v_accvgpr_read_b32 v40, a50
	;; [unrolled: 1-line block ×9, first 2 shown]
	s_and_b64 s[16:17], s[46:47], vcc
	v_accvgpr_read_b32 v52, a20
	v_accvgpr_read_b32 v51, a23
	;; [unrolled: 1-line block ×14, first 2 shown]
	s_mov_b64 exec, s[16:17]
	s_cbranch_execz .LBB12_1929
; %bb.1914:                             ;   in Loop: Header=BB12_1831 Depth=1
	v_lshlrev_b32_e32 v0, 6, v0
	v_accvgpr_read_b32 v2, a22
	v_sub_u32_e32 v0, v2, v0
	v_ashrrev_i32_e32 v2, 31, v0
	v_lshrrev_b32_e32 v2, 26, v2
	v_add_u32_e32 v2, v0, v2
	v_ashrrev_i32_e32 v3, 6, v2
	v_and_b32_e32 v2, 0xffffffc0, v2
	v_sub_u32_e32 v15, v0, v2
	v_lshlrev_b32_e32 v0, 4, v15
	v_sub_u32_e32 v1, v4, v14
	v_lshl_add_u32 v2, v3, 10, v0
	v_add_u32_e32 v0, v2, v14
	v_sub_u32_e32 v19, v1, v2
	v_ashrrev_i32_e32 v2, 31, v1
	v_lshrrev_b32_e32 v2, 22, v2
	v_add_u32_e32 v2, v1, v2
	v_and_b32_e32 v16, 0xfffffc00, v2
	v_sub_u32_e32 v18, v1, v16
	v_mov_b32_e32 v23, v4
	v_ashrrev_i32_e32 v4, 10, v2
	v_cmp_lt_i32_e32 vcc, 15, v18
	s_mov_b64 s[50:51], 0
	s_nop 0
	v_addc_co_u32_e64 v1, s[16:17], 0, v4, vcc
	v_sub_u32_e32 v17, v1, v3
	v_ashrrev_i32_e32 v1, 31, v0
	v_lshl_add_u64 v[10:11], v[0:1], 0, v[24:25]
	v_cmp_lt_i32_e64 s[16:17], 15, v19
                                        ; implicit-def: $vgpr2_vgpr3
	s_and_saveexec_b64 s[48:49], s[16:17]
	s_cbranch_execz .LBB12_1924
; %bb.1915:                             ;   in Loop: Header=BB12_1831 Depth=1
	s_trap 2
	ds_read_b64 v[2:3], v0
	s_mov_b64 s[54:55], 0
                                        ; implicit-def: $sgpr52_sgpr53
	s_waitcnt lgkmcnt(0)
	v_lshl_add_u64 v[12:13], v[2:3], 0, v[0:1]
                                        ; implicit-def: $vgpr2_vgpr3
	s_branch .LBB12_1917
.LBB12_1916:                            ;   in Loop: Header=BB12_1917 Depth=2
	s_or_b64 exec, exec, s[16:17]
	v_cmp_gt_i32_e64 s[16:17], 16, v19
	s_or_b64 s[50:51], s[16:17], s[50:51]
	s_andn2_b64 s[16:17], s[52:53], exec
	s_and_b64 s[52:53], s[54:55], exec
	s_or_b64 s[52:53], s[16:17], s[52:53]
	s_andn2_b64 exec, exec, s[50:51]
	s_cbranch_execz .LBB12_1923
.LBB12_1917:                            ;   Parent Loop BB12_1831 Depth=1
                                        ; =>  This Inner Loop Header: Depth=2
	global_load_dwordx4 v[6:9], v[12:13], off nt
	s_and_saveexec_b64 s[16:17], s[54:55]
	s_cbranch_execz .LBB12_1919
; %bb.1918:                             ;   in Loop: Header=BB12_1917 Depth=2
	v_lshl_add_u64 v[0:1], v[10:11], 0, v[42:43]
	global_store_dwordx4 v[10:11], v[2:5], off nt
	v_mov_b64_e32 v[10:11], v[0:1]
.LBB12_1919:                            ;   in Loop: Header=BB12_1917 Depth=2
	s_or_b64 exec, exec, s[16:17]
	v_sub_u32_e32 v19, v19, v55
	v_lshl_add_u64 v[12:13], v[12:13], 0, v[42:43]
	v_cmp_lt_i32_e64 s[54:55], 15, v19
	s_and_saveexec_b64 s[16:17], s[54:55]
	s_cbranch_execz .LBB12_1921
; %bb.1920:                             ;   in Loop: Header=BB12_1917 Depth=2
	global_load_dwordx4 v[2:5], v[12:13], off nt
	v_lshl_add_u64 v[12:13], v[12:13], 0, s[30:31]
.LBB12_1921:                            ;   in Loop: Header=BB12_1917 Depth=2
	s_or_b64 exec, exec, s[16:17]
	v_sub_u32_e32 v17, v17, v52
	s_waitcnt vmcnt(0)
	global_store_dwordx4 v[10:11], v[6:9], off nt
	v_lshl_add_u64 v[10:11], v[10:11], 0, s[30:31]
	s_and_saveexec_b64 s[16:17], s[54:55]
	s_cbranch_execz .LBB12_1916
; %bb.1922:                             ;   in Loop: Header=BB12_1917 Depth=2
	v_lshl_add_u64 v[10:11], v[10:11], 0, v[40:41]
	v_lshl_add_u64 v[12:13], v[12:13], 0, v[40:41]
	v_sub_u32_e32 v19, v19, v55
	v_sub_u32_e32 v17, v17, v52
	s_branch .LBB12_1916
.LBB12_1923:                            ;   in Loop: Header=BB12_1831 Depth=1
	s_or_b64 exec, exec, s[50:51]
	s_and_b64 s[50:51], s[52:53], exec
.LBB12_1924:                            ;   in Loop: Header=BB12_1831 Depth=1
	s_or_b64 exec, exec, s[48:49]
	s_and_saveexec_b64 s[16:17], s[50:51]
	s_cbranch_execz .LBB12_1926
; %bb.1925:                             ;   in Loop: Header=BB12_1831 Depth=1
	global_store_dwordx4 v[10:11], v[2:5], off nt
.LBB12_1926:                            ;   in Loop: Header=BB12_1831 Depth=1
	s_or_b64 exec, exec, s[16:17]
	v_and_b32_e32 v0, 14, v23
	v_cndmask_b32_e32 v4, v18, v0, vcc
	v_cmp_ne_u32_e64 s[16:17], 0, v4
	s_mov_b64 s[50:51], s[44:45]
                                        ; implicit-def: $vgpr8
                                        ; implicit-def: $vgpr9
                                        ; implicit-def: $vgpr1
	s_and_saveexec_b64 s[48:49], s[16:17]
	s_cbranch_execz .LBB12_1928
; %bb.1927:                             ;   in Loop: Header=BB12_1831 Depth=1
	v_sub_u32_e32 v0, v18, v0
	v_cndmask_b32_e32 v0, 0, v0, vcc
	v_cmp_lt_i32_e32 vcc, 0, v17
	v_add3_u32 v8, v16, v14, v0
	s_or_b64 s[50:51], s[44:45], exec
	v_cndmask_b32_e32 v0, 0, v52, vcc
	v_sub_u32_e32 v0, v0, v17
	v_lshl_add_u32 v0, v0, 6, v15
	v_ashrrev_i32_e32 v1, 31, v0
	v_lshrrev_b32_e32 v1, 26, v1
	v_add_u32_e32 v2, v0, v1
	v_ashrrev_i32_e32 v1, 6, v2
	v_and_b32_e32 v2, 0xffffffc0, v2
	v_sub_u32_e32 v9, v0, v2
.LBB12_1928:                            ;   in Loop: Header=BB12_1831 Depth=1
	s_or_b64 exec, exec, s[48:49]
	s_andn2_b64 s[16:17], s[44:45], exec
	s_and_b64 vcc, s[50:51], exec
	s_or_b64 s[44:45], s[16:17], vcc
.LBB12_1929:                            ;   in Loop: Header=BB12_1831 Depth=1
	s_or_b64 exec, exec, s[46:47]
	v_accvgpr_read_b32 v12, a49
	s_and_saveexec_b64 s[16:17], s[44:45]
	s_cbranch_execz .LBB12_1951
.LBB12_1930:                            ;   in Loop: Header=BB12_1831 Depth=1
	v_lshlrev_b32_e32 v0, 11, v1
	v_lshlrev_b32_e32 v2, 1, v9
	v_add3_u32 v0, v8, v2, v0
	v_ashrrev_i32_e32 v2, 31, v4
	v_lshrrev_b32_e32 v2, 21, v2
	v_add_u32_e32 v2, v4, v2
	v_ashrrev_i32_e32 v10, 11, v2
	v_accvgpr_write_b32 a0, v20
	v_sub_u32_e32 v6, v10, v1
	v_ashrrev_i32_e32 v1, 31, v0
	s_waitcnt lgkmcnt(0)
	v_accvgpr_write_b32 a6, v24
	v_accvgpr_write_b32 a3, v12
	;; [unrolled: 1-line block ×5, first 2 shown]
	v_lshl_add_u64 v[2:3], v[24:25], 0, v[0:1]
	v_cmp_lt_i32_e32 vcc, 0, v6
	s_mov_b64 s[46:47], 0
                                        ; implicit-def: $vgpr11
                                        ; implicit-def: $vgpr12
                                        ; implicit-def: $vgpr13
                                        ; implicit-def: $vgpr14
                                        ; implicit-def: $vgpr15
                                        ; implicit-def: $vgpr16
                                        ; implicit-def: $vgpr17
                                        ; implicit-def: $vgpr18
                                        ; implicit-def: $vgpr19
                                        ; implicit-def: $vgpr20
                                        ; implicit-def: $vgpr21
                                        ; implicit-def: $vgpr22
                                        ; implicit-def: $vgpr23
                                        ; implicit-def: $vgpr24
                                        ; implicit-def: $vgpr25
                                        ; implicit-def: $vgpr26
	s_and_saveexec_b64 s[44:45], vcc
	s_cbranch_execz .LBB12_1938
; %bb.1931:                             ;   in Loop: Header=BB12_1831 Depth=1
	v_accvgpr_write_b32 a4, v4
	s_trap 2
	ds_read_b64 v[4:5], v0
	s_mov_b64 s[50:51], 0
                                        ; implicit-def: $sgpr48_sgpr49
                                        ; implicit-def: $vgpr11
                                        ; implicit-def: $vgpr12
                                        ; implicit-def: $vgpr13
                                        ; implicit-def: $vgpr14
                                        ; implicit-def: $vgpr15
                                        ; implicit-def: $vgpr16
                                        ; implicit-def: $vgpr17
                                        ; implicit-def: $vgpr18
                                        ; implicit-def: $vgpr19
                                        ; implicit-def: $vgpr20
                                        ; implicit-def: $vgpr21
                                        ; implicit-def: $vgpr22
                                        ; implicit-def: $vgpr23
                                        ; implicit-def: $vgpr24
                                        ; implicit-def: $vgpr25
                                        ; implicit-def: $vgpr26
	s_waitcnt lgkmcnt(0)
	v_lshl_add_u64 v[4:5], v[4:5], 0, v[0:1]
	s_branch .LBB12_1933
.LBB12_1932:                            ;   in Loop: Header=BB12_1933 Depth=2
	s_or_b64 exec, exec, vcc
	s_waitcnt vmcnt(0) lgkmcnt(0)
	flat_store_short v[2:3], v0 nt
	flat_store_short v[2:3], v1 offset:128 nt
	flat_store_short v[2:3], v27 offset:256 nt
	;; [unrolled: 1-line block ×15, first 2 shown]
	v_lshl_add_u64 v[0:1], v[2:3], 0, v[6:7]
	v_lshl_add_u64 v[4:5], v[4:5], 0, v[6:7]
	v_sub_u32_e32 v6, v49, v50
	v_cmp_gt_i32_e32 vcc, 1, v6
	s_or_b64 s[46:47], vcc, s[46:47]
	s_andn2_b64 vcc, s[48:49], exec
	s_and_b64 s[48:49], s[50:51], exec
	v_lshl_add_u64 v[2:3], v[0:1], 0, s[34:35]
	s_or_b64 s[48:49], vcc, s[48:49]
	s_andn2_b64 exec, exec, s[46:47]
	s_cbranch_execz .LBB12_1937
.LBB12_1933:                            ;   Parent Loop BB12_1831 Depth=1
                                        ; =>  This Inner Loop Header: Depth=2
	flat_load_ushort v0, v[4:5] nt
	flat_load_ushort v1, v[4:5] offset:128 nt
	flat_load_ushort v27, v[4:5] offset:256 nt
	;; [unrolled: 1-line block ×15, first 2 shown]
	s_and_saveexec_b64 vcc, s[50:51]
	s_cbranch_execz .LBB12_1935
; %bb.1934:                             ;   in Loop: Header=BB12_1933 Depth=2
	flat_store_short v[2:3], v11 nt
	flat_store_short v[2:3], v12 offset:128 nt
	flat_store_short v[2:3], v13 offset:256 nt
	;; [unrolled: 1-line block ×15, first 2 shown]
	v_lshl_add_u64 v[2:3], v[2:3], 0, v[46:47]
.LBB12_1935:                            ;   in Loop: Header=BB12_1933 Depth=2
	s_or_b64 exec, exec, vcc
	v_sub_u32_e32 v49, v6, v52
	v_lshl_add_u64 v[4:5], v[4:5], 0, v[46:47]
	v_cmp_lt_i32_e64 s[50:51], 0, v49
	v_mov_b32_e32 v50, 0
	v_mov_b64_e32 v[6:7], 0
	s_and_saveexec_b64 vcc, s[50:51]
	s_cbranch_execz .LBB12_1932
; %bb.1936:                             ;   in Loop: Header=BB12_1933 Depth=2
	flat_load_ushort v11, v[4:5] nt
	flat_load_ushort v12, v[4:5] offset:128 nt
	flat_load_ushort v13, v[4:5] offset:256 nt
	;; [unrolled: 1-line block ×15, first 2 shown]
	v_lshl_add_u64 v[4:5], v[4:5], 0, s[34:35]
	v_mov_b32_e32 v50, v52
	v_mov_b64_e32 v[6:7], v[44:45]
	s_branch .LBB12_1932
.LBB12_1937:                            ;   in Loop: Header=BB12_1831 Depth=1
	s_or_b64 exec, exec, s[46:47]
	s_and_b64 s[46:47], s[48:49], exec
	v_accvgpr_read_b32 v4, a4
.LBB12_1938:                            ;   in Loop: Header=BB12_1831 Depth=1
	s_or_b64 exec, exec, s[44:45]
	s_and_saveexec_b64 vcc, s[46:47]
	s_cbranch_execz .LBB12_1940
; %bb.1939:                             ;   in Loop: Header=BB12_1831 Depth=1
	flat_store_short v[2:3], v11 nt
	flat_store_short v[2:3], v12 offset:128 nt
	flat_store_short v[2:3], v13 offset:256 nt
	;; [unrolled: 1-line block ×15, first 2 shown]
.LBB12_1940:                            ;   in Loop: Header=BB12_1831 Depth=1
	s_or_b64 exec, exec, vcc
	v_lshlrev_b32_e32 v0, 11, v10
	v_cmp_ne_u32_e32 vcc, v4, v0
	v_accvgpr_read_b32 v21, a1
	v_accvgpr_read_b32 v11, a7
	s_and_b64 vcc, exec, vcc
	v_accvgpr_read_b32 v20, a0
	v_accvgpr_read_b32 v22, a2
	v_accvgpr_read_b32 v12, a3
	v_accvgpr_read_b32 v10, a6
	s_mov_b64 exec, vcc
	s_cbranch_execz .LBB12_1951
; %bb.1941:                             ;   in Loop: Header=BB12_1831 Depth=1
	v_lshlrev_b32_e32 v1, 6, v6
	v_sub_u32_e32 v1, v9, v1
	v_ashrrev_i32_e32 v2, 31, v1
	v_lshrrev_b32_e32 v2, 26, v2
	v_add_u32_e32 v2, v1, v2
	v_and_b32_e32 v3, 0x7fffffc0, v2
	v_sub_u32_e32 v1, v1, v3
	v_lshlrev_b32_e32 v2, 1, v2
	v_and_b32_e32 v2, 0xffffff80, v2
	v_lshlrev_b32_e32 v1, 1, v1
	v_add3_u32 v1, v2, v1, v0
	v_add_u32_e32 v0, v1, v8
	v_sub_u32_e32 v4, v4, v1
	v_ashrrev_i32_e32 v1, 31, v0
	v_lshl_add_u64 v[2:3], v[10:11], 0, v[0:1]
	v_cmp_lt_i32_e32 vcc, 1, v4
	s_mov_b64 s[46:47], 0
                                        ; implicit-def: $vgpr6
	s_and_saveexec_b64 s[44:45], vcc
	s_cbranch_execz .LBB12_1949
; %bb.1942:                             ;   in Loop: Header=BB12_1831 Depth=1
	s_trap 2
	ds_read_b64 v[6:7], v0
	s_mov_b64 s[50:51], 0
                                        ; implicit-def: $sgpr48_sgpr49
	s_waitcnt lgkmcnt(0)
	v_lshl_add_u64 v[0:1], v[6:7], 0, v[0:1]
                                        ; implicit-def: $vgpr6
	s_branch .LBB12_1944
.LBB12_1943:                            ;   in Loop: Header=BB12_1944 Depth=2
	s_or_b64 exec, exec, vcc
	s_waitcnt vmcnt(0) lgkmcnt(0)
	flat_store_short v[2:3], v7 nt
	v_lshl_add_u64 v[2:3], v[2:3], 0, v[4:5]
	v_lshl_add_u64 v[0:1], v[0:1], 0, v[4:5]
	v_sub_u32_e32 v4, v8, v9
	v_cmp_gt_i32_e32 vcc, 2, v4
	s_or_b64 s[46:47], vcc, s[46:47]
	s_andn2_b64 vcc, s[48:49], exec
	s_and_b64 s[48:49], s[50:51], exec
	v_lshl_add_u64 v[2:3], v[2:3], 0, s[36:37]
	s_or_b64 s[48:49], vcc, s[48:49]
	s_andn2_b64 exec, exec, s[46:47]
	s_cbranch_execz .LBB12_1948
.LBB12_1944:                            ;   Parent Loop BB12_1831 Depth=1
                                        ; =>  This Inner Loop Header: Depth=2
	flat_load_ushort v7, v[0:1] nt
	s_and_saveexec_b64 vcc, s[50:51]
	s_cbranch_execz .LBB12_1946
; %bb.1945:                             ;   in Loop: Header=BB12_1944 Depth=2
	v_lshl_add_u64 v[8:9], v[2:3], 0, v[60:61]
	flat_store_short v[2:3], v6 nt
	v_mov_b64_e32 v[2:3], v[8:9]
.LBB12_1946:                            ;   in Loop: Header=BB12_1944 Depth=2
	s_or_b64 exec, exec, vcc
	v_sub_u32_e32 v8, v4, v56
	v_lshl_add_u64 v[0:1], v[0:1], 0, v[60:61]
	v_cmp_lt_i32_e64 s[50:51], 1, v8
	v_mov_b32_e32 v9, 0
	v_mov_b64_e32 v[4:5], 0
	s_and_saveexec_b64 vcc, s[50:51]
	s_cbranch_execz .LBB12_1943
; %bb.1947:                             ;   in Loop: Header=BB12_1944 Depth=2
	flat_load_ushort v6, v[0:1] nt
	v_lshl_add_u64 v[0:1], v[0:1], 0, s[36:37]
	v_mov_b32_e32 v9, v56
	v_mov_b64_e32 v[4:5], v[58:59]
	s_branch .LBB12_1943
.LBB12_1948:                            ;   in Loop: Header=BB12_1831 Depth=1
	s_or_b64 exec, exec, s[46:47]
	s_and_b64 s[46:47], s[48:49], exec
.LBB12_1949:                            ;   in Loop: Header=BB12_1831 Depth=1
	s_or_b64 exec, exec, s[44:45]
	s_and_b64 exec, exec, s[46:47]
	s_cbranch_execz .LBB12_1951
; %bb.1950:                             ;   in Loop: Header=BB12_1831 Depth=1
	flat_store_short v[2:3], v6 nt
.LBB12_1951:                            ;   in Loop: Header=BB12_1831 Depth=1
	s_or_b64 exec, exec, s[16:17]
	v_accvgpr_read_b32 v0, a30
	v_cmp_ne_u32_e64 s[16:17], 0, v0
.LBB12_1952:                            ;   in Loop: Header=BB12_1831 Depth=1
	s_and_saveexec_b64 s[44:45], s[4:5]
	s_cbranch_execz .LBB12_1971
; %bb.1953:                             ;   in Loop: Header=BB12_1831 Depth=1
	s_and_saveexec_b64 vcc, s[26:27]
	s_xor_b64 s[46:47], exec, vcc
	s_cbranch_execz .LBB12_1968
; %bb.1954:                             ;   in Loop: Header=BB12_1831 Depth=1
	s_and_saveexec_b64 s[48:49], s[6:7]
	s_cbranch_execz .LBB12_1967
; %bb.1955:                             ;   in Loop: Header=BB12_1831 Depth=1
	s_mov_b64 s[52:53], exec
	v_mbcnt_lo_u32_b32 v0, s52, 0
	v_mbcnt_hi_u32_b32 v0, s53, v0
	v_cmp_eq_u32_e32 vcc, 0, v0
	s_waitcnt lgkmcnt(0)
	s_and_saveexec_b64 s[50:51], vcc
	s_cbranch_execz .LBB12_1957
; %bb.1956:                             ;   in Loop: Header=BB12_1831 Depth=1
	s_bcnt1_i32_b64 vcc_lo, s[52:53]
	v_mov_b32_e32 v50, vcc_lo
	ds_add_u64 v0, v[50:51]
	s_trap 2
.LBB12_1957:                            ;   in Loop: Header=BB12_1831 Depth=1
	s_or_b64 exec, exec, s[50:51]
	s_trap 2
	ds_read_b64 v[0:1], v0
	v_accvgpr_read_b32 v2, a36
	v_accvgpr_read_b32 v3, a37
	v_lshl_add_u64 v[2:3], v[2:3], 0, v[52:53]
	v_accvgpr_write_b32 a37, v3
	v_accvgpr_write_b32 a36, v2
	s_waitcnt lgkmcnt(0)
	v_cmp_lt_u64_e32 vcc, v[0:1], v[2:3]
	s_and_saveexec_b64 s[50:51], vcc
	s_cbranch_execz .LBB12_1966
; %bb.1958:                             ;   in Loop: Header=BB12_1831 Depth=1
	s_mov_b32 s65, 0
	s_mov_b64 s[52:53], 0
                                        ; implicit-def: $sgpr54_sgpr55
                                        ; implicit-def: $sgpr56_sgpr57
	s_branch .LBB12_1960
.LBB12_1959:                            ;   in Loop: Header=BB12_1960 Depth=2
	s_or_b64 exec, exec, s[60:61]
	s_and_b64 vcc, exec, vcc
	s_or_b64 s[52:53], vcc, s[52:53]
	s_andn2_b64 vcc, s[54:55], exec
	s_and_b64 s[54:55], s[56:57], exec
	s_or_b64 s[54:55], vcc, s[54:55]
	s_andn2_b64 exec, exec, s[52:53]
	s_cbranch_execz .LBB12_1964
.LBB12_1960:                            ;   Parent Loop BB12_1831 Depth=1
                                        ; =>  This Inner Loop Header: Depth=2
	s_add_i32 s65, s65, 1
	s_cmpk_lg_i32 s65, 0x2710
	s_cselect_b64 s[58:59], -1, 0
	s_and_b64 vcc, exec, s[58:59]
                                        ; implicit-def: $sgpr60_sgpr61
	s_cbranch_vccnz .LBB12_1962
; %bb.1961:                             ;   in Loop: Header=BB12_1960 Depth=2
	s_trap 2
	ds_read_b64 v[0:1], v0
	s_andn2_b64 s[58:59], s[58:59], exec
	s_mov_b32 s65, 0
	s_mov_b64 s[60:61], -1
	s_waitcnt vmcnt(0) lgkmcnt(0)
	flat_load_dword v0, v[0:1] sc0 sc1
	s_waitcnt vmcnt(0) lgkmcnt(0)
	buffer_inv sc0 sc1
	v_cmp_eq_u32_e32 vcc, 0, v0
	s_and_b64 vcc, vcc, exec
	s_or_b64 s[58:59], s[58:59], vcc
.LBB12_1962:                            ;   in Loop: Header=BB12_1960 Depth=2
	s_andn2_b64 s[56:57], s[56:57], exec
	s_and_b64 s[60:61], s[60:61], exec
	s_mov_b64 vcc, -1
	s_or_b64 s[56:57], s[56:57], s[60:61]
	s_and_saveexec_b64 s[60:61], s[58:59]
	s_cbranch_execz .LBB12_1959
; %bb.1963:                             ;   in Loop: Header=BB12_1960 Depth=2
	s_sleep 1
	s_trap 2
	ds_read_b64 v[0:1], v0
	v_accvgpr_read_b32 v2, a36
	v_accvgpr_read_b32 v3, a37
	s_andn2_b64 s[56:57], s[56:57], exec
	s_waitcnt lgkmcnt(0)
	v_cmp_ge_u64_e32 vcc, v[0:1], v[2:3]
	s_orn2_b64 vcc, vcc, exec
	s_branch .LBB12_1959
.LBB12_1964:                            ;   in Loop: Header=BB12_1831 Depth=1
	s_or_b64 exec, exec, s[52:53]
	s_and_saveexec_b64 vcc, s[54:55]
	s_xor_b64 vcc, exec, vcc
	s_cbranch_execz .LBB12_1966
; %bb.1965:                             ;   in Loop: Header=BB12_1831 Depth=1
	v_mov_b32_e32 v0, 1
	ds_write_b32 v0, v0
	s_trap 2
.LBB12_1966:                            ;   in Loop: Header=BB12_1831 Depth=1
	s_or_b64 exec, exec, s[50:51]
	;;#ASMSTART
	s_wakeup
	;;#ASMEND
.LBB12_1967:                            ;   in Loop: Header=BB12_1831 Depth=1
	s_or_b64 exec, exec, s[48:49]
.LBB12_1968:                            ;   in Loop: Header=BB12_1831 Depth=1
	s_andn2_saveexec_b64 vcc, s[46:47]
	s_cbranch_execz .LBB12_1970
; %bb.1969:                             ;   in Loop: Header=BB12_1831 Depth=1
	s_waitcnt lgkmcnt(0)
	s_barrier
.LBB12_1970:                            ;   in Loop: Header=BB12_1831 Depth=1
	s_or_b64 exec, exec, vcc
.LBB12_1971:                            ;   in Loop: Header=BB12_1831 Depth=1
	s_or_b64 exec, exec, s[44:45]
	v_accvgpr_read_b32 v0, a15
	v_and_b32_e32 v0, 16, v0
	v_cmp_ne_u32_e32 vcc, 0, v0
	s_and_b64 vcc, vcc, s[16:17]
	s_and_saveexec_b64 s[16:17], vcc
	s_cbranch_execz .LBB12_1973
; %bb.1972:                             ;   in Loop: Header=BB12_1831 Depth=1
	buffer_wbl2 sc1
	s_waitcnt vmcnt(0) lgkmcnt(0)
	buffer_inv sc1
.LBB12_1973:                            ;   in Loop: Header=BB12_1831 Depth=1
	s_or_b64 exec, exec, s[16:17]
	v_cmp_ne_u32_e32 vcc, 0, v0
	s_and_saveexec_b64 s[16:17], vcc
	s_cbranch_execz .LBB12_1977
; %bb.1974:                             ;   in Loop: Header=BB12_1831 Depth=1
	s_and_saveexec_b64 vcc, s[14:15]
	s_cbranch_execz .LBB12_1976
; %bb.1975:                             ;   in Loop: Header=BB12_1831 Depth=1
	v_accvgpr_read_b32 v0, a40
	v_accvgpr_read_b32 v1, a41
	v_mov_b32_e32 v2, 1
	flat_store_dword v[0:1], v2 sc0 sc1
.LBB12_1976:                            ;   in Loop: Header=BB12_1831 Depth=1
	s_or_b64 exec, exec, vcc
	v_accvgpr_read_b32 v0, a24
	v_accvgpr_read_b32 v2, a26
	;; [unrolled: 1-line block ×3, first 2 shown]
	v_lshl_add_u64 v[2:3], v[2:3], 0, 1
	v_accvgpr_read_b32 v1, a25
	v_accvgpr_write_b32 a27, v3
	v_accvgpr_write_b32 a26, v2
	;; [unrolled: 1-line block ×4, first 2 shown]
	v_accvgpr_read_b32 v0, a28
	v_accvgpr_read_b32 v1, a29
	flat_store_dwordx2 v[0:1], v[2:3] sc0 sc1
.LBB12_1977:                            ;   in Loop: Header=BB12_1831 Depth=1
	s_or_b64 exec, exec, s[16:17]
	v_mov_b32_e32 v0, v12
.LBB12_1978:                            ;   in Loop: Header=BB12_1831 Depth=1
	s_or_b64 exec, exec, s[42:43]
	s_and_saveexec_b64 s[42:43], s[40:41]
	s_cbranch_execz .LBB12_1830
; %bb.1979:                             ;   in Loop: Header=BB12_1831 Depth=1
	v_accvgpr_read_b32 v1, a15
	v_accvgpr_read_b32 v2, a24
	v_and_b32_e32 v1, 8, v1
	v_accvgpr_read_b32 v4, a26
	v_accvgpr_read_b32 v5, a27
	v_cmp_ne_u32_e32 vcc, 0, v1
	s_mov_b64 s[40:41], -1
	v_lshl_add_u64 v[4:5], v[4:5], 0, 1
	v_accvgpr_read_b32 v3, a25
	s_and_saveexec_b64 s[16:17], vcc
	s_cbranch_execz .LBB12_1991
; %bb.1980:                             ;   in Loop: Header=BB12_1831 Depth=1
	v_accvgpr_read_b32 v2, a34
	v_accvgpr_read_b32 v8, a24
	;; [unrolled: 1-line block ×5, first 2 shown]
	v_lshl_add_u64 v[6:7], v[2:3], 0, 8
	v_lshl_add_u64 v[2:3], v[10:11], 0, 1
	v_cmp_lt_u64_e32 vcc, v[6:7], v[2:3]
	v_mov_b32_e32 v1, 1
	v_accvgpr_read_b32 v9, a25
	s_and_saveexec_b64 s[40:41], vcc
	s_cbranch_execz .LBB12_1990
; %bb.1981:                             ;   in Loop: Header=BB12_1831 Depth=1
	s_mov_b64 s[44:45], 0
	v_mov_b32_e32 v1, 0
                                        ; implicit-def: $sgpr46_sgpr47
	s_branch .LBB12_1985
.LBB12_1982:                            ;   in Loop: Header=BB12_1985 Depth=2
	s_or_b64 exec, exec, s[54:55]
	v_mov_b32_e32 v6, 0
	s_orn2_b64 s[52:53], s[52:53], exec
.LBB12_1983:                            ;   in Loop: Header=BB12_1985 Depth=2
	s_or_b64 exec, exec, s[50:51]
	s_andn2_b64 vcc, s[46:47], exec
	s_and_b64 s[46:47], s[52:53], exec
	s_or_b64 s[46:47], vcc, s[46:47]
	v_mov_b32_e32 v1, v6
.LBB12_1984:                            ;   in Loop: Header=BB12_1985 Depth=2
	s_or_b64 exec, exec, s[48:49]
	s_waitcnt vmcnt(0) lgkmcnt(0)
	v_accvgpr_read_b32 v6, a34
	v_accvgpr_read_b32 v7, a35
	v_lshl_add_u64 v[6:7], v[6:7], 0, 8
	v_cmp_ge_u64_e32 vcc, v[6:7], v[2:3]
	s_xor_b64 s[48:49], s[46:47], -1
	s_or_b64 vcc, s[48:49], vcc
	s_and_b64 vcc, exec, vcc
	s_or_b64 s[44:45], vcc, s[44:45]
	s_andn2_b64 exec, exec, s[44:45]
	s_cbranch_execz .LBB12_1989
.LBB12_1985:                            ;   Parent Loop BB12_1831 Depth=1
                                        ; =>  This Inner Loop Header: Depth=2
	v_accvgpr_read_b32 v6, a28
	v_accvgpr_read_b32 v7, a29
	s_sleep 1
	flat_load_dwordx2 a[34:35], v[6:7] sc0 sc1
	v_accvgpr_read_b32 v6, a15
	v_and_b32_e32 v6, 64, v6
	v_cmp_eq_u32_e32 vcc, 0, v6
	s_andn2_b64 s[46:47], s[46:47], exec
	s_and_saveexec_b64 s[48:49], vcc
	s_cbranch_execz .LBB12_1984
; %bb.1986:                             ;   in Loop: Header=BB12_1985 Depth=2
	v_add_u32_e32 v6, 1, v1
	v_cmp_lt_i32_e32 vcc, s63, v1
	s_mov_b64 s[52:53], -1
	s_and_saveexec_b64 s[50:51], vcc
	s_cbranch_execz .LBB12_1983
; %bb.1987:                             ;   in Loop: Header=BB12_1985 Depth=2
	s_trap 2
	ds_read_b64 v[6:7], v0
	s_waitcnt vmcnt(0) lgkmcnt(0)
	flat_load_dword v1, v[6:7] sc0 sc1
	s_waitcnt vmcnt(0) lgkmcnt(0)
	buffer_inv sc0 sc1
	v_cmp_ne_u32_e32 vcc, 0, v1
	s_and_saveexec_b64 s[54:55], vcc
	s_cbranch_execz .LBB12_1982
; %bb.1988:                             ;   in Loop: Header=BB12_1985 Depth=2
	v_accvgpr_read_b32 v6, a15
	v_or_b32_e32 v6, 64, v6
	v_accvgpr_write_b32 a15, v6
	s_xor_b64 s[52:53], exec, -1
	ds_write_b32 v0, v1
	s_trap 2
	s_branch .LBB12_1982
.LBB12_1989:                            ;   in Loop: Header=BB12_1831 Depth=1
	s_or_b64 exec, exec, s[44:45]
	v_accvgpr_read_b32 v1, a15
	v_and_b32_e32 v1, 8, v1
.LBB12_1990:                            ;   in Loop: Header=BB12_1831 Depth=1
	s_or_b64 exec, exec, s[40:41]
	v_cmp_eq_u32_e32 vcc, 0, v1
	s_orn2_b64 s[40:41], vcc, exec
	;;#ASMSTART
	s_wakeup
	;;#ASMEND
.LBB12_1991:                            ;   in Loop: Header=BB12_1831 Depth=1
	s_or_b64 exec, exec, s[16:17]
	v_sub_u32_e32 v0, v22, v0
	s_xor_b64 s[16:17], s[40:41], -1
	v_min_i32_e32 v2, v12, v0
	s_and_saveexec_b64 s[40:41], s[16:17]
	s_cbranch_execz .LBB12_2001
; %bb.1992:                             ;   in Loop: Header=BB12_1831 Depth=1
	v_accvgpr_read_b32 v0, a15
	v_accvgpr_read_b32 v6, a24
	v_and_b32_e32 v0, 0x100, v0
	v_accvgpr_read_b32 v8, a26
	v_cmp_ne_u32_e32 vcc, 0, v0
	v_and_b32_e32 v8, 7, v8
	s_mov_b64 s[16:17], -1
	v_accvgpr_read_b32 v7, a25
                                        ; implicit-def: $vgpr0_vgpr1
	s_and_saveexec_b64 s[44:45], vcc
	s_cbranch_execz .LBB12_1996
; %bb.1993:                             ;   in Loop: Header=BB12_1831 Depth=1
	v_accvgpr_read_b32 v0, a24
	v_accvgpr_read_b32 v1, a25
	v_mad_u64_u32 v[6:7], s[16:17], v8, 24, v[0:1]
	flat_load_dword v9, v[6:7]
	v_ashrrev_i32_e32 v3, 31, v2
	v_lshlrev_b64 v[0:1], 1, v[2:3]
	flat_store_dwordx2 v[6:7], v[0:1] offset:8
                                        ; implicit-def: $vgpr0_vgpr1
	s_waitcnt vmcnt(0) lgkmcnt(0)
	v_cmp_ne_u32_e32 vcc, 1, v9
	v_cmp_eq_u32_e64 s[16:17], 1, v9
	s_and_saveexec_b64 s[46:47], s[16:17]
	s_cbranch_execz .LBB12_1995
; %bb.1994:                             ;   in Loop: Header=BB12_1831 Depth=1
	flat_load_dword v0, v[6:7] offset:4 sc0 sc1
	s_waitcnt vmcnt(0) lgkmcnt(0)
	v_ashrrev_i32_e32 v1, 31, v0
	v_lshrrev_b64 v[0:1], 1, v[0:1]
.LBB12_1995:                            ;   in Loop: Header=BB12_1831 Depth=1
	s_or_b64 exec, exec, s[46:47]
	s_orn2_b64 s[16:17], vcc, exec
.LBB12_1996:                            ;   in Loop: Header=BB12_1831 Depth=1
	s_or_b64 exec, exec, s[44:45]
	s_and_saveexec_b64 vcc, s[16:17]
	s_cbranch_execz .LBB12_1998
; %bb.1997:                             ;   in Loop: Header=BB12_1831 Depth=1
	scratch_load_dwordx2 v[0:1], off, s33 offset:256 ; 8-byte Folded Reload
	s_waitcnt vmcnt(0)
	v_mad_i64_i32 v[0:1], s[16:17], v8, v0, 0
.LBB12_1998:                            ;   in Loop: Header=BB12_1831 Depth=1
	s_or_b64 exec, exec, vcc
	v_accvgpr_read_b32 v6, a32
	v_accvgpr_read_b32 v7, a33
	v_lshl_add_u64 v[0:1], v[0:1], 1, v[6:7]
	ds_write_b64 v0, v[0:1] offset:784
	v_accvgpr_read_b32 v0, a15
	v_and_b32_e32 v0, 0x2000, v0
	v_cmp_ne_u32_e32 vcc, 0, v0
	s_and_saveexec_b64 s[16:17], vcc
	s_cbranch_execz .LBB12_2000
; %bb.1999:                             ;   in Loop: Header=BB12_1831 Depth=1
	ds_read_b64 v[0:1], v0 offset:584
	s_waitcnt lgkmcnt(0)
	v_lshl_add_u64 v[0:1], v[0:1], 0, 1
	ds_write_b64 v0, v[0:1] offset:584
.LBB12_2000:                            ;   in Loop: Header=BB12_1831 Depth=1
	s_or_b64 exec, exec, s[16:17]
	v_accvgpr_write_b32 a27, v5
	v_accvgpr_write_b32 a26, v4
.LBB12_2001:                            ;   in Loop: Header=BB12_1831 Depth=1
	s_or_b64 exec, exec, s[40:41]
	s_and_saveexec_b64 s[16:17], s[4:5]
	s_cbranch_execz .LBB12_2020
; %bb.2002:                             ;   in Loop: Header=BB12_1831 Depth=1
	s_and_saveexec_b64 vcc, s[26:27]
	s_xor_b64 s[40:41], exec, vcc
	s_cbranch_execz .LBB12_2017
; %bb.2003:                             ;   in Loop: Header=BB12_1831 Depth=1
	s_and_saveexec_b64 s[44:45], s[6:7]
	s_cbranch_execz .LBB12_2016
; %bb.2004:                             ;   in Loop: Header=BB12_1831 Depth=1
	s_mov_b64 s[48:49], exec
	v_mbcnt_lo_u32_b32 v0, s48, 0
	v_mbcnt_hi_u32_b32 v0, s49, v0
	v_cmp_eq_u32_e32 vcc, 0, v0
	s_waitcnt lgkmcnt(0)
	s_and_saveexec_b64 s[46:47], vcc
	s_cbranch_execz .LBB12_2006
; %bb.2005:                             ;   in Loop: Header=BB12_1831 Depth=1
	s_bcnt1_i32_b64 vcc_lo, s[48:49]
	v_mov_b32_e32 v50, vcc_lo
	ds_add_u64 v0, v[50:51]
	s_trap 2
.LBB12_2006:                            ;   in Loop: Header=BB12_1831 Depth=1
	s_or_b64 exec, exec, s[46:47]
	s_trap 2
	ds_read_b64 v[0:1], v0
	v_accvgpr_read_b32 v4, a36
	v_accvgpr_read_b32 v5, a37
	v_lshl_add_u64 v[4:5], v[4:5], 0, v[52:53]
	v_accvgpr_write_b32 a37, v5
	v_accvgpr_write_b32 a36, v4
	s_waitcnt lgkmcnt(0)
	v_cmp_lt_u64_e32 vcc, v[0:1], v[4:5]
	s_and_saveexec_b64 s[46:47], vcc
	s_cbranch_execz .LBB12_2015
; %bb.2007:                             ;   in Loop: Header=BB12_1831 Depth=1
	s_mov_b32 s58, 0
	s_mov_b64 s[48:49], 0
                                        ; implicit-def: $sgpr50_sgpr51
                                        ; implicit-def: $sgpr52_sgpr53
	s_branch .LBB12_2009
.LBB12_2008:                            ;   in Loop: Header=BB12_2009 Depth=2
	s_or_b64 exec, exec, s[56:57]
	s_and_b64 vcc, exec, vcc
	s_or_b64 s[48:49], vcc, s[48:49]
	s_andn2_b64 vcc, s[50:51], exec
	s_and_b64 s[50:51], s[52:53], exec
	s_or_b64 s[50:51], vcc, s[50:51]
	s_andn2_b64 exec, exec, s[48:49]
	s_cbranch_execz .LBB12_2013
.LBB12_2009:                            ;   Parent Loop BB12_1831 Depth=1
                                        ; =>  This Inner Loop Header: Depth=2
	s_add_i32 s58, s58, 1
	s_cmpk_lg_i32 s58, 0x2710
	s_cselect_b64 s[54:55], -1, 0
	s_and_b64 vcc, exec, s[54:55]
                                        ; implicit-def: $sgpr56_sgpr57
	s_cbranch_vccnz .LBB12_2011
; %bb.2010:                             ;   in Loop: Header=BB12_2009 Depth=2
	s_trap 2
	ds_read_b64 v[0:1], v0
	s_andn2_b64 s[54:55], s[54:55], exec
	s_mov_b32 s58, 0
	s_mov_b64 s[56:57], -1
	s_waitcnt vmcnt(0) lgkmcnt(0)
	flat_load_dword v0, v[0:1] sc0 sc1
	s_waitcnt vmcnt(0) lgkmcnt(0)
	buffer_inv sc0 sc1
	v_cmp_eq_u32_e32 vcc, 0, v0
	s_and_b64 vcc, vcc, exec
	s_or_b64 s[54:55], s[54:55], vcc
.LBB12_2011:                            ;   in Loop: Header=BB12_2009 Depth=2
	s_andn2_b64 s[52:53], s[52:53], exec
	s_and_b64 s[56:57], s[56:57], exec
	s_mov_b64 vcc, -1
	s_or_b64 s[52:53], s[52:53], s[56:57]
	s_and_saveexec_b64 s[56:57], s[54:55]
	s_cbranch_execz .LBB12_2008
; %bb.2012:                             ;   in Loop: Header=BB12_2009 Depth=2
	s_sleep 1
	s_trap 2
	ds_read_b64 v[0:1], v0
	v_accvgpr_read_b32 v4, a36
	v_accvgpr_read_b32 v5, a37
	s_andn2_b64 s[52:53], s[52:53], exec
	s_waitcnt lgkmcnt(0)
	v_cmp_ge_u64_e32 vcc, v[0:1], v[4:5]
	s_orn2_b64 vcc, vcc, exec
	s_branch .LBB12_2008
.LBB12_2013:                            ;   in Loop: Header=BB12_1831 Depth=1
	s_or_b64 exec, exec, s[48:49]
	s_and_saveexec_b64 vcc, s[50:51]
	s_xor_b64 vcc, exec, vcc
	s_cbranch_execz .LBB12_2015
; %bb.2014:                             ;   in Loop: Header=BB12_1831 Depth=1
	v_mov_b32_e32 v0, 1
	ds_write_b32 v0, v0
	s_trap 2
.LBB12_2015:                            ;   in Loop: Header=BB12_1831 Depth=1
	s_or_b64 exec, exec, s[46:47]
	;;#ASMSTART
	s_wakeup
	;;#ASMEND
.LBB12_2016:                            ;   in Loop: Header=BB12_1831 Depth=1
	s_or_b64 exec, exec, s[44:45]
.LBB12_2017:                            ;   in Loop: Header=BB12_1831 Depth=1
	s_andn2_saveexec_b64 vcc, s[40:41]
	s_cbranch_execz .LBB12_2019
; %bb.2018:                             ;   in Loop: Header=BB12_1831 Depth=1
	s_waitcnt lgkmcnt(0)
	s_barrier
.LBB12_2019:                            ;   in Loop: Header=BB12_1831 Depth=1
	s_or_b64 exec, exec, vcc
.LBB12_2020:                            ;   in Loop: Header=BB12_1831 Depth=1
	s_or_b64 exec, exec, s[16:17]
	s_trap 2
	ds_read_b32 v1, v0
	v_accvgpr_read_b32 v0, a15
	v_cmp_lt_i32_e32 vcc, 0, v2
	v_and_b32_e32 v0, 16, v0
	s_waitcnt lgkmcnt(0)
	v_readfirstlane_b32 s16, v1
	s_cmp_eq_u32 s16, 0
	s_cselect_b64 s[16:17], -1, 0
	s_and_b64 s[16:17], vcc, s[16:17]
	v_cmp_ne_u32_e32 vcc, 0, v0
	s_and_b64 vcc, vcc, s[16:17]
	s_and_saveexec_b64 s[16:17], vcc
	s_cbranch_execz .LBB12_2022
; %bb.2021:                             ;   in Loop: Header=BB12_1831 Depth=1
	buffer_wbl2 sc1
	s_waitcnt vmcnt(0)
	buffer_inv sc1
.LBB12_2022:                            ;   in Loop: Header=BB12_1831 Depth=1
	s_or_b64 exec, exec, s[16:17]
	v_cmp_ne_u32_e32 vcc, 0, v0
	s_and_saveexec_b64 s[16:17], vcc
	s_cbranch_execz .LBB12_1829
; %bb.2023:                             ;   in Loop: Header=BB12_1831 Depth=1
	s_and_saveexec_b64 vcc, s[14:15]
	s_cbranch_execz .LBB12_1828
; %bb.2024:                             ;   in Loop: Header=BB12_1831 Depth=1
	v_accvgpr_read_b32 v0, a40
	v_accvgpr_read_b32 v1, a41
	v_mov_b32_e32 v2, 1
	flat_store_dword v[0:1], v2 sc0 sc1
	s_branch .LBB12_1828
.LBB12_2025:
	s_or_b64 exec, exec, s[22:23]
.LBB12_2026:
	s_or_b64 exec, exec, s[20:21]
.LBB12_2027:
	s_or_b64 exec, exec, s[18:19]
	v_accvgpr_read_b32 v1, a15
	v_and_b32_e32 v0, 0x800, v1
	v_cmp_eq_u32_e32 vcc, 0, v0
	s_and_saveexec_b64 s[0:1], vcc
	s_cbranch_execz .LBB12_2062
; %bb.2028:
	v_and_b32_e32 v0, 48, v1
	v_cmp_ne_u32_e32 vcc, 0, v0
	s_and_saveexec_b64 s[2:3], vcc
	s_cbranch_execz .LBB12_2030
; %bb.2029:
	scratch_load_dwordx2 v[0:1], off, s33 offset:284 ; 8-byte Folded Reload
	v_accvgpr_read_b32 v2, a24
	v_accvgpr_read_b32 v4, a26
	;; [unrolled: 1-line block ×4, first 2 shown]
	s_waitcnt vmcnt(0)
	flat_store_dwordx2 v[0:1], v[4:5] offset:104
.LBB12_2030:
	s_or_b64 exec, exec, s[2:3]
	v_accvgpr_read_b32 v0, a15
	s_movk_i32 s2, 0x88
	v_and_b32_e32 v0, 0x88, v0
	v_cmp_eq_u32_e32 vcc, s2, v0
	s_and_saveexec_b64 s[2:3], vcc
	s_cbranch_execz .LBB12_2042
; %bb.2031:
	v_accvgpr_read_b32 v2, a24
	v_accvgpr_read_b32 v4, a26
	v_add_u32_e32 v0, -1, v4
	v_accvgpr_read_b32 v3, a25
	v_and_b32_e32 v0, 7, v0
	v_mad_u64_u32 v[0:1], s[4:5], v0, 24, v[2:3]
	v_lshl_add_u64 v[0:1], v[0:1], 0, 8
	s_mov_b64 s[4:5], 0
	v_mov_b32_e32 v2, 0
	s_movk_i32 s20, 0x270e
                                        ; implicit-def: $sgpr6_sgpr7
	s_branch .LBB12_2036
.LBB12_2032:                            ;   in Loop: Header=BB12_2036 Depth=1
	s_or_b64 exec, exec, s[18:19]
	v_mov_b32_e32 v3, 0
	s_orn2_b64 s[16:17], s[16:17], exec
.LBB12_2033:                            ;   in Loop: Header=BB12_2036 Depth=1
	s_or_b64 exec, exec, s[14:15]
	s_and_b64 s[14:15], s[16:17], exec
	v_mov_b32_e32 v2, v3
.LBB12_2034:                            ;   in Loop: Header=BB12_2036 Depth=1
	s_or_b64 exec, exec, s[12:13]
	s_xor_b64 s[12:13], s[14:15], -1
	s_andn2_b64 s[6:7], s[6:7], exec
	s_and_b64 s[12:13], s[12:13], exec
	s_or_b64 s[6:7], s[6:7], s[12:13]
.LBB12_2035:                            ;   in Loop: Header=BB12_2036 Depth=1
	s_or_b64 exec, exec, s[10:11]
	s_and_b64 s[10:11], exec, s[6:7]
	s_or_b64 s[4:5], s[10:11], s[4:5]
	s_andn2_b64 exec, exec, s[4:5]
	s_cbranch_execz .LBB12_2041
.LBB12_2036:                            ; =>This Inner Loop Header: Depth=1
	flat_load_dwordx2 v[4:5], v[0:1] sc0 sc1
	s_waitcnt vmcnt(0)
	s_or_b64 s[6:7], s[6:7], exec
	s_waitcnt lgkmcnt(0)
	v_cmp_ne_u64_e32 vcc, -1, v[4:5]
	s_and_saveexec_b64 s[10:11], vcc
	s_cbranch_execz .LBB12_2035
; %bb.2037:                             ;   in Loop: Header=BB12_2036 Depth=1
	v_accvgpr_read_b32 v3, a15
	v_and_b32_e32 v3, 64, v3
	v_cmp_eq_u32_e32 vcc, 0, v3
	s_mov_b64 s[14:15], 0
	s_and_saveexec_b64 s[12:13], vcc
	s_cbranch_execz .LBB12_2034
; %bb.2038:                             ;   in Loop: Header=BB12_2036 Depth=1
	v_add_u32_e32 v3, 1, v2
	v_cmp_lt_i32_e32 vcc, s20, v2
	s_mov_b64 s[16:17], -1
	s_and_saveexec_b64 s[14:15], vcc
	s_cbranch_execz .LBB12_2033
; %bb.2039:                             ;   in Loop: Header=BB12_2036 Depth=1
	s_trap 2
	ds_read_b64 v[2:3], v0
	s_waitcnt lgkmcnt(0)
	flat_load_dword v2, v[2:3] sc0 sc1
	s_waitcnt vmcnt(0) lgkmcnt(0)
	buffer_inv sc0 sc1
	v_cmp_ne_u32_e32 vcc, 0, v2
	s_and_saveexec_b64 s[18:19], vcc
	s_cbranch_execz .LBB12_2032
; %bb.2040:                             ;   in Loop: Header=BB12_2036 Depth=1
	v_accvgpr_read_b32 v3, a15
	v_or_b32_e32 v3, 64, v3
	v_accvgpr_write_b32 a15, v3
	s_xor_b64 s[16:17], exec, -1
	ds_write_b32 v0, v2
	s_trap 2
	s_branch .LBB12_2032
.LBB12_2041:
	s_or_b64 exec, exec, s[4:5]
.LBB12_2042:
	s_or_b64 exec, exec, s[2:3]
	v_accvgpr_read_b32 v0, a15
	v_and_b32_e32 v0, 0x2000, v0
	v_cmp_ne_u32_e32 vcc, 0, v0
	s_and_saveexec_b64 s[2:3], vcc
	s_cbranch_execz .LBB12_2044
; %bb.2043:
	s_trap 2
	scratch_load_dwordx2 v[2:3], off, s33 offset:404 ; 8-byte Folded Reload
	ds_read_b64 v[0:1], v0
	s_waitcnt vmcnt(0) lgkmcnt(0)
	flat_store_dwordx2 v[2:3], v[0:1] offset:16
.LBB12_2044:
	s_or_b64 exec, exec, s[2:3]
	scratch_load_dword v0, off, s33 offset:280 ; 4-byte Folded Reload
	s_waitcnt vmcnt(0)
	v_cmp_ne_u32_e32 vcc, 64, v0
	s_and_b64 exec, exec, vcc
	s_cbranch_execz .LBB12_2062
; %bb.2045:
	scratch_load_dword v1, off, s33 offset:304 ; 4-byte Folded Reload
	scratch_load_dword v0, off, s33 offset:280 ; 4-byte Folded Reload
	s_waitcnt vmcnt(0)
	v_cmp_ne_u32_sdwa s[2:3], v1, v0 src0_sel:WORD_0 src1_sel:DWORD
	s_and_saveexec_b64 s[4:5], s[2:3]
	s_xor_b64 s[2:3], exec, s[4:5]
	s_cbranch_execz .LBB12_2060
; %bb.2046:
	scratch_load_dword v0, off, s33 offset:292 ; 4-byte Folded Reload
	s_waitcnt vmcnt(0)
	v_and_b32_e32 v0, 63, v0
	v_cmp_eq_u32_e32 vcc, 0, v0
	s_and_saveexec_b64 s[4:5], vcc
	s_cbranch_execz .LBB12_2059
; %bb.2047:
	s_mov_b64 s[10:11], exec
	v_mbcnt_lo_u32_b32 v0, s10, 0
	v_mbcnt_hi_u32_b32 v0, s11, v0
	v_cmp_eq_u32_e32 vcc, 0, v0
	s_waitcnt lgkmcnt(0)
	s_and_saveexec_b64 s[6:7], vcc
	s_cbranch_execz .LBB12_2049
; %bb.2048:
	s_bcnt1_i32_b64 s10, s[10:11]
	v_mov_b32_e32 v0, s10
	v_mov_b32_e32 v1, 0
	ds_add_u64 v0, v[0:1]
	s_trap 2
.LBB12_2049:
	s_or_b64 exec, exec, s[6:7]
	scratch_load_dword v1, off, s33 offset:280 ; 4-byte Folded Reload
	s_trap 2
	v_accvgpr_read_b32 v4, a36
	v_accvgpr_read_b32 v5, a37
	s_waitcnt vmcnt(0)
	v_ashrrev_i32_e32 v0, 31, v1
	v_lshrrev_b32_e32 v0, 26, v0
	ds_read_b64 v[2:3], v0
	v_add_u32_e32 v0, v1, v0
	v_ashrrev_i32_e32 v0, 6, v0
	v_ashrrev_i32_e32 v1, 31, v0
	v_lshl_add_u64 v[0:1], v[4:5], 0, v[0:1]
	s_waitcnt lgkmcnt(0)
	v_cmp_lt_u64_e32 vcc, v[2:3], v[0:1]
	s_and_saveexec_b64 s[6:7], vcc
	s_cbranch_execz .LBB12_2058
; %bb.2050:
	s_mov_b32 s22, 0
	s_mov_b64 s[10:11], 0
                                        ; implicit-def: $sgpr12_sgpr13
                                        ; implicit-def: $sgpr14_sgpr15
	s_branch .LBB12_2052
.LBB12_2051:                            ;   in Loop: Header=BB12_2052 Depth=1
	s_or_b64 exec, exec, s[20:21]
	s_and_b64 s[16:17], exec, s[18:19]
	s_or_b64 s[10:11], s[16:17], s[10:11]
	s_andn2_b64 s[12:13], s[12:13], exec
	s_and_b64 s[16:17], s[14:15], exec
	s_or_b64 s[12:13], s[12:13], s[16:17]
	s_andn2_b64 exec, exec, s[10:11]
	s_cbranch_execz .LBB12_2056
.LBB12_2052:                            ; =>This Inner Loop Header: Depth=1
	s_add_i32 s22, s22, 1
	s_cmpk_lg_i32 s22, 0x2710
	s_cselect_b64 s[16:17], -1, 0
	s_and_b64 vcc, exec, s[16:17]
                                        ; implicit-def: $sgpr20_sgpr21
	s_cbranch_vccnz .LBB12_2054
; %bb.2053:                             ;   in Loop: Header=BB12_2052 Depth=1
	s_trap 2
	ds_read_b64 v[2:3], v0
	s_andn2_b64 s[16:17], s[16:17], exec
	s_mov_b32 s22, 0
	s_mov_b64 s[20:21], -1
	s_waitcnt lgkmcnt(0)
	flat_load_dword v2, v[2:3] sc0 sc1
	s_waitcnt vmcnt(0) lgkmcnt(0)
	buffer_inv sc0 sc1
	v_cmp_eq_u32_e32 vcc, 0, v2
	s_and_b64 s[18:19], vcc, exec
	s_or_b64 s[16:17], s[16:17], s[18:19]
.LBB12_2054:                            ;   in Loop: Header=BB12_2052 Depth=1
	s_andn2_b64 s[14:15], s[14:15], exec
	s_and_b64 s[20:21], s[20:21], exec
	s_mov_b64 s[18:19], -1
	s_or_b64 s[14:15], s[14:15], s[20:21]
	s_and_saveexec_b64 s[20:21], s[16:17]
	s_cbranch_execz .LBB12_2051
; %bb.2055:                             ;   in Loop: Header=BB12_2052 Depth=1
	s_sleep 1
	s_trap 2
	ds_read_b64 v[2:3], v0
	s_andn2_b64 s[14:15], s[14:15], exec
	s_waitcnt lgkmcnt(0)
	v_cmp_ge_u64_e32 vcc, v[2:3], v[0:1]
	s_orn2_b64 s[18:19], vcc, exec
	s_branch .LBB12_2051
.LBB12_2056:
	s_or_b64 exec, exec, s[10:11]
	s_and_saveexec_b64 s[10:11], s[12:13]
	s_xor_b64 s[10:11], exec, s[10:11]
	s_cbranch_execz .LBB12_2058
; %bb.2057:
	v_mov_b32_e32 v0, 1
	ds_write_b32 v0, v0
	s_trap 2
.LBB12_2058:
	s_or_b64 exec, exec, s[6:7]
	;;#ASMSTART
	s_wakeup
	;;#ASMEND
.LBB12_2059:
	s_or_b64 exec, exec, s[4:5]
.LBB12_2060:
	s_andn2_saveexec_b64 s[2:3], s[2:3]
	s_cbranch_execz .LBB12_2062
; %bb.2061:
	s_waitcnt lgkmcnt(0)
	s_barrier
.LBB12_2062:
	s_or_b64 exec, exec, s[0:1]
.LBB12_2063:
	s_andn2_saveexec_b64 s[22:23], s[24:25]
	s_cbranch_execz .LBB12_2065
; %bb.2064:
	s_getpc_b64 s[0:1]
	s_add_u32 s0, s0, __PRETTY_FUNCTION__._ZN10PrimitivesI12hip_bfloat168FuncProdIS0_E12FanSymmetricILi1EELi0E11ProtoSimpleILi1ELi1ELi0ELi4ELi0ELi0EELi0ELb0ELi0ELi1ELi0EEC2EiiPKiS9_PKvPvmhhhP15ncclDevWorkCollP14ncclDevWorkP2pii@rel32@lo+4
	s_addc_u32 s1, s1, __PRETTY_FUNCTION__._ZN10PrimitivesI12hip_bfloat168FuncProdIS0_E12FanSymmetricILi1EELi0E11ProtoSimpleILi1ELi1ELi0ELi4ELi0ELi0EELi0ELb0ELi0ELi1ELi0EEC2EiiPKiS9_PKvPvmhhhP15ncclDevWorkCollP14ncclDevWorkP2pii@rel32@hi+12
	v_mov_b32_e32 v0, s0
	v_mov_b32_e32 v1, s1
	s_getpc_b64 s[2:3]
	s_add_u32 s2, s2, __assert_fail@rel32@lo+4
	s_addc_u32 s3, s3, __assert_fail@rel32@hi+12
	s_swappc_b64 s[30:31], s[2:3]
	; divergent unreachable
.LBB12_2065:
	s_or_b64 exec, exec, s[22:23]
	scratch_load_dword a63, off, s33        ; 4-byte Folded Reload
	scratch_load_dword a62, off, s33 offset:4 ; 4-byte Folded Reload
	scratch_load_dword a61, off, s33 offset:8 ; 4-byte Folded Reload
	scratch_load_dword a60, off, s33 offset:12 ; 4-byte Folded Reload
	scratch_load_dword a59, off, s33 offset:16 ; 4-byte Folded Reload
	scratch_load_dword a58, off, s33 offset:20 ; 4-byte Folded Reload
	scratch_load_dword a57, off, s33 offset:24 ; 4-byte Folded Reload
	scratch_load_dword a56, off, s33 offset:28 ; 4-byte Folded Reload
	scratch_load_dword a55, off, s33 offset:32 ; 4-byte Folded Reload
	scratch_load_dword a54, off, s33 offset:36 ; 4-byte Folded Reload
	scratch_load_dword a53, off, s33 offset:40 ; 4-byte Folded Reload
	scratch_load_dword a52, off, s33 offset:44 ; 4-byte Folded Reload
	scratch_load_dword a51, off, s33 offset:48 ; 4-byte Folded Reload
	scratch_load_dword a50, off, s33 offset:52 ; 4-byte Folded Reload
	scratch_load_dword a49, off, s33 offset:56 ; 4-byte Folded Reload
	scratch_load_dword a48, off, s33 offset:60 ; 4-byte Folded Reload
	scratch_load_dword a47, off, s33 offset:64 ; 4-byte Folded Reload
	scratch_load_dword a46, off, s33 offset:68 ; 4-byte Folded Reload
	scratch_load_dword a45, off, s33 offset:72 ; 4-byte Folded Reload
	scratch_load_dword a44, off, s33 offset:76 ; 4-byte Folded Reload
	scratch_load_dword a43, off, s33 offset:80 ; 4-byte Folded Reload
	scratch_load_dword a42, off, s33 offset:84 ; 4-byte Folded Reload
	s_waitcnt lgkmcnt(0)
	scratch_load_dword a41, off, s33 offset:88 ; 4-byte Folded Reload
	scratch_load_dword a40, off, s33 offset:92 ; 4-byte Folded Reload
	;; [unrolled: 1-line block ×25, first 2 shown]
	v_readlane_b32 s30, v63, 41
	v_readlane_b32 s31, v63, 42
	;; [unrolled: 1-line block ×44, first 2 shown]
	s_or_saveexec_b64 s[2:3], -1
	scratch_load_dword v63, off, s33 offset:432 ; 4-byte Folded Reload
	s_mov_b64 exec, s[2:3]
	s_addk_i32 s32, 0xfe40
	s_mov_b32 s33, s0
	s_waitcnt vmcnt(0)
	s_setpc_b64 s[30:31]
.Lfunc_end12:
	.size	_ZN12_GLOBAL__N_17runRingI12hip_bfloat168FuncProdIS1_E11ProtoSimpleILi1ELi1ELi0ELi4ELi0ELi0EELi0ELi4ELi1EEEviiP15ncclDevWorkColl, .Lfunc_end12-_ZN12_GLOBAL__N_17runRingI12hip_bfloat168FuncProdIS1_E11ProtoSimpleILi1ELi1ELi0ELi4ELi0ELi0EELi0ELi4ELi1EEEviiP15ncclDevWorkColl
                                        ; -- End function
	.section	.AMDGPU.csdata,"",@progbits
; Function info:
; codeLenInByte = 66740
; NumSgprs: 81
; NumVgprs: 64
; NumAgprs: 64
; TotalNumVgprs: 128
; ScratchSize: 512
; MemoryBound: 1
	.text
	.p2align	2                               ; -- Begin function _Z46ncclDevFunc_Reduce_RING_SIMPLE_Prod_bf16_0_1_4v
	.type	_Z46ncclDevFunc_Reduce_RING_SIMPLE_Prod_bf16_0_1_4v,@function
_Z46ncclDevFunc_Reduce_RING_SIMPLE_Prod_bf16_0_1_4v: ; @_Z46ncclDevFunc_Reduce_RING_SIMPLE_Prod_bf16_0_1_4v
; %bb.0:
	s_waitcnt vmcnt(0) expcnt(0) lgkmcnt(0)
	s_mov_b32 s0, s33
	s_mov_b32 s33, s32
	s_or_saveexec_b64 s[2:3], -1
	scratch_store_dword off, v43, s33 offset:16 ; 4-byte Folded Spill
	s_mov_b64 exec, s[2:3]
	v_writelane_b32 v43, s0, 51
	s_add_i32 s32, s32, 32
	scratch_store_dword off, v40, s33 offset:12 ; 4-byte Folded Spill
	scratch_store_dword off, v41, s33 offset:8 ; 4-byte Folded Spill
	;; [unrolled: 1-line block ×3, first 2 shown]
	scratch_store_dword off, v63, s33       ; 4-byte Folded Spill
	v_writelane_b32 v43, s34, 0
	v_writelane_b32 v43, s35, 1
	;; [unrolled: 1-line block ×50, first 2 shown]
	s_nop 1
	v_writelane_b32 v43, s31, 50
	s_trap 2
	ds_read_b32 v0, v0
	v_mov_b32_e32 v40, v31
	s_mov_b32 s75, s12
	s_mov_b64 s[76:77], s[8:9]
	s_waitcnt lgkmcnt(0)
	v_cmp_gt_i32_e32 vcc, 1, v0
	s_cbranch_vccnz .LBB13_8
; %bb.1:
	s_mov_b32 s82, 0
	v_and_b32_e32 v41, 0x3ff, v40
	s_mov_b64 s[78:79], src_shared_base
	v_mov_b32_e32 v42, 6
	s_branch .LBB13_3
.LBB13_2:                               ;   in Loop: Header=BB13_3 Depth=1
	s_or_b64 exec, exec, s[80:81]
	s_trap 2
	ds_read_b32 v0, v0
	s_add_i32 s82, s82, 1
	s_waitcnt lgkmcnt(0)
	v_cmp_lt_i32_e32 vcc, s82, v0
	s_cbranch_vccz .LBB13_8
.LBB13_3:                               ; =>This Inner Loop Header: Depth=1
	s_trap 2
	ds_read_b32 v0, v0
	s_cmp_eq_u32 s82, 0
	s_cbranch_scc1 .LBB13_6
; %bb.4:                                ;   in Loop: Header=BB13_3 Depth=1
	s_trap 2
	s_waitcnt lgkmcnt(0)
	ds_read_b32 v1, v0
	s_waitcnt lgkmcnt(0)
	v_xor_b32_e32 v1, v1, v0
	v_and_b32_e32 v1, 0xff0000, v1
	v_cmp_eq_u32_e32 vcc, 0, v1
	s_cbranch_vccnz .LBB13_6
; %bb.5:                                ;   in Loop: Header=BB13_3 Depth=1
	s_barrier
	ds_read_b32 v0, v0
.LBB13_6:                               ;   in Loop: Header=BB13_3 Depth=1
	s_waitcnt lgkmcnt(0)
	v_lshlrev_b32_sdwa v1, v42, v0 dst_sel:DWORD dst_unused:UNUSED_PAD src0_sel:DWORD src1_sel:BYTE_2
	v_cmp_lt_u32_e32 vcc, v41, v1
	s_and_saveexec_b64 s[80:81], vcc
	s_cbranch_execz .LBB13_2
; %bb.7:                                ;   in Loop: Header=BB13_3 Depth=1
	s_mov_b64 s[8:9], s[76:77]
	s_mov_b32 s12, s75
	v_mov_b32_e32 v31, v40
	v_mov_b32_e32 v0, v41
	;; [unrolled: 1-line block ×3, first 2 shown]
	s_getpc_b64 s[0:1]
	s_add_u32 s0, s0, _ZN12_GLOBAL__N_17runRingI12hip_bfloat168FuncProdIS1_E11ProtoSimpleILi1ELi1ELi0ELi4ELi0ELi0EELi0ELi4ELi1EEEviiP15ncclDevWorkColl@rel32@lo+4
	s_addc_u32 s1, s1, _ZN12_GLOBAL__N_17runRingI12hip_bfloat168FuncProdIS1_E11ProtoSimpleILi1ELi1ELi0ELi4ELi0ELi0EELi0ELi4ELi1EEEviiP15ncclDevWorkColl@rel32@hi+12
	s_swappc_b64 s[30:31], s[0:1]
	s_branch .LBB13_2
.LBB13_8:
	scratch_load_dword v63, off, s33        ; 4-byte Folded Reload
	scratch_load_dword v42, off, s33 offset:4 ; 4-byte Folded Reload
	scratch_load_dword v41, off, s33 offset:8 ; 4-byte Folded Reload
	;; [unrolled: 1-line block ×3, first 2 shown]
	v_readlane_b32 s30, v43, 49
	v_readlane_b32 s31, v43, 50
	;; [unrolled: 1-line block ×52, first 2 shown]
	s_or_saveexec_b64 s[2:3], -1
	scratch_load_dword v43, off, s33 offset:16 ; 4-byte Folded Reload
	s_mov_b64 exec, s[2:3]
	s_addk_i32 s32, 0xffe0
	s_mov_b32 s33, s0
	s_waitcnt vmcnt(0)
	s_setpc_b64 s[30:31]
.Lfunc_end13:
	.size	_Z46ncclDevFunc_Reduce_RING_SIMPLE_Prod_bf16_0_1_4v, .Lfunc_end13-_Z46ncclDevFunc_Reduce_RING_SIMPLE_Prod_bf16_0_1_4v
                                        ; -- End function
	.section	.AMDGPU.csdata,"",@progbits
; Function info:
; codeLenInByte = 1200
; NumSgprs: 89
; NumVgprs: 64
; NumAgprs: 64
; TotalNumVgprs: 128
; ScratchSize: 544
; MemoryBound: 0
	.text
	.p2alignl 6, 3212836864
	.fill 256, 4, 3212836864
	.type	__const.__assert_fail.fmt,@object ; @__const.__assert_fail.fmt
	.section	.rodata.str1.16,"aMS",@progbits,1
	.p2align	4, 0x0
__const.__assert_fail.fmt:
	.asciz	"%s:%u: %s: Device-side assertion `%s' failed.\n"
	.size	__const.__assert_fail.fmt, 47

	.type	.str.1,@object                  ; @.str.1
	.section	.rodata.str1.1,"aMS",@progbits,1
.str.1:
	.asciz	"2*(nrecv+nsend) <= nthreads"
	.size	.str.1, 28

	.type	.str.2,@object                  ; @.str.2
.str.2:
	.asciz	"/root/src/amdgpu-assembly/repos/ROCm__rccl/hipify/src/device/prims_simple.h"
	.size	.str.2, 76

	.type	__PRETTY_FUNCTION__._ZN10PrimitivesI12hip_bfloat168FuncProdIS0_E12FanSymmetricILi1EELi0E11ProtoSimpleILi1ELi1ELi0ELi1ELi0ELi0EELi0ELb0ELi0ELi0ELi0EEC2EiiPKiS9_PKvPvmhhhP15ncclDevWorkCollP14ncclDevWorkP2pii,@object ; @__PRETTY_FUNCTION__._ZN10PrimitivesI12hip_bfloat168FuncProdIS0_E12FanSymmetricILi1EELi0E11ProtoSimpleILi1ELi1ELi0ELi1ELi0ELi0EELi0ELb0ELi0ELi0ELi0EEC2EiiPKiS9_PKvPvmhhhP15ncclDevWorkCollP14ncclDevWorkP2pii
__PRETTY_FUNCTION__._ZN10PrimitivesI12hip_bfloat168FuncProdIS0_E12FanSymmetricILi1EELi0E11ProtoSimpleILi1ELi1ELi0ELi1ELi0ELi0EELi0ELb0ELi0ELi0ELi0EEC2EiiPKiS9_PKvPvmhhhP15ncclDevWorkCollP14ncclDevWorkP2pii:
	.asciz	"Primitives<hip_bfloat16, FuncProd<hip_bfloat16>, FanSymmetric<1>, 0, ProtoSimple<1, 1, 0, 1>, 0>::Primitives(int, int, const int *, const int *, const void *, void *, uint64_t, uint8_t, uint8_t, uint8_t, struct ncclDevWorkColl *, struct ncclDevWorkP2p *, int, int) [T = hip_bfloat16, RedOp = FuncProd<hip_bfloat16>, Fan = FanSymmetric<1>, Direct = 0, Proto = ProtoSimple<1, 1, 0, 1>, P2p = 0, isNetOffload = false, Metadata = 0, Pipeline = 0, useAcc = 0]"
	.size	__PRETTY_FUNCTION__._ZN10PrimitivesI12hip_bfloat168FuncProdIS0_E12FanSymmetricILi1EELi0E11ProtoSimpleILi1ELi1ELi0ELi1ELi0ELi0EELi0ELb0ELi0ELi0ELi0EEC2EiiPKiS9_PKvPvmhhhP15ncclDevWorkCollP14ncclDevWorkP2pii, 455

	.type	__PRETTY_FUNCTION__._ZN10PrimitivesI12hip_bfloat168FuncProdIS0_E12FanSymmetricILi1EELi0E11ProtoSimpleILi1ELi1ELi0ELi1ELi0ELi0EELi0ELb0ELi0ELi1ELi0EEC2EiiPKiS9_PKvPvmhhhP15ncclDevWorkCollP14ncclDevWorkP2pii,@object ; @__PRETTY_FUNCTION__._ZN10PrimitivesI12hip_bfloat168FuncProdIS0_E12FanSymmetricILi1EELi0E11ProtoSimpleILi1ELi1ELi0ELi1ELi0ELi0EELi0ELb0ELi0ELi1ELi0EEC2EiiPKiS9_PKvPvmhhhP15ncclDevWorkCollP14ncclDevWorkP2pii
__PRETTY_FUNCTION__._ZN10PrimitivesI12hip_bfloat168FuncProdIS0_E12FanSymmetricILi1EELi0E11ProtoSimpleILi1ELi1ELi0ELi1ELi0ELi0EELi0ELb0ELi0ELi1ELi0EEC2EiiPKiS9_PKvPvmhhhP15ncclDevWorkCollP14ncclDevWorkP2pii:
	.asciz	"Primitives<hip_bfloat16, FuncProd<hip_bfloat16>, FanSymmetric<1>, 0, ProtoSimple<1, 1, 0, 1>, 0, false, 0, 1>::Primitives(int, int, const int *, const int *, const void *, void *, uint64_t, uint8_t, uint8_t, uint8_t, struct ncclDevWorkColl *, struct ncclDevWorkP2p *, int, int) [T = hip_bfloat16, RedOp = FuncProd<hip_bfloat16>, Fan = FanSymmetric<1>, Direct = 0, Proto = ProtoSimple<1, 1, 0, 1>, P2p = 0, isNetOffload = false, Metadata = 0, Pipeline = 1, useAcc = 0]"
	.size	__PRETTY_FUNCTION__._ZN10PrimitivesI12hip_bfloat168FuncProdIS0_E12FanSymmetricILi1EELi0E11ProtoSimpleILi1ELi1ELi0ELi1ELi0ELi0EELi0ELb0ELi0ELi1ELi0EEC2EiiPKiS9_PKvPvmhhhP15ncclDevWorkCollP14ncclDevWorkP2pii, 468

	.type	__PRETTY_FUNCTION__._ZN10PrimitivesI12hip_bfloat168FuncProdIS0_E12FanSymmetricILi1EELi0E11ProtoSimpleILi1ELi1ELi0ELi2ELi0ELi0EELi0ELb0ELi0ELi0ELi0EEC2EiiPKiS9_PKvPvmhhhP15ncclDevWorkCollP14ncclDevWorkP2pii,@object ; @__PRETTY_FUNCTION__._ZN10PrimitivesI12hip_bfloat168FuncProdIS0_E12FanSymmetricILi1EELi0E11ProtoSimpleILi1ELi1ELi0ELi2ELi0ELi0EELi0ELb0ELi0ELi0ELi0EEC2EiiPKiS9_PKvPvmhhhP15ncclDevWorkCollP14ncclDevWorkP2pii
__PRETTY_FUNCTION__._ZN10PrimitivesI12hip_bfloat168FuncProdIS0_E12FanSymmetricILi1EELi0E11ProtoSimpleILi1ELi1ELi0ELi2ELi0ELi0EELi0ELb0ELi0ELi0ELi0EEC2EiiPKiS9_PKvPvmhhhP15ncclDevWorkCollP14ncclDevWorkP2pii:
	.asciz	"Primitives<hip_bfloat16, FuncProd<hip_bfloat16>, FanSymmetric<1>, 0, ProtoSimple<1, 1, 0, 2>, 0>::Primitives(int, int, const int *, const int *, const void *, void *, uint64_t, uint8_t, uint8_t, uint8_t, struct ncclDevWorkColl *, struct ncclDevWorkP2p *, int, int) [T = hip_bfloat16, RedOp = FuncProd<hip_bfloat16>, Fan = FanSymmetric<1>, Direct = 0, Proto = ProtoSimple<1, 1, 0, 2>, P2p = 0, isNetOffload = false, Metadata = 0, Pipeline = 0, useAcc = 0]"
	.size	__PRETTY_FUNCTION__._ZN10PrimitivesI12hip_bfloat168FuncProdIS0_E12FanSymmetricILi1EELi0E11ProtoSimpleILi1ELi1ELi0ELi2ELi0ELi0EELi0ELb0ELi0ELi0ELi0EEC2EiiPKiS9_PKvPvmhhhP15ncclDevWorkCollP14ncclDevWorkP2pii, 455

	.type	__PRETTY_FUNCTION__._ZN10PrimitivesI12hip_bfloat168FuncProdIS0_E12FanSymmetricILi1EELi0E11ProtoSimpleILi1ELi1ELi0ELi2ELi0ELi0EELi0ELb0ELi0ELi1ELi0EEC2EiiPKiS9_PKvPvmhhhP15ncclDevWorkCollP14ncclDevWorkP2pii,@object ; @__PRETTY_FUNCTION__._ZN10PrimitivesI12hip_bfloat168FuncProdIS0_E12FanSymmetricILi1EELi0E11ProtoSimpleILi1ELi1ELi0ELi2ELi0ELi0EELi0ELb0ELi0ELi1ELi0EEC2EiiPKiS9_PKvPvmhhhP15ncclDevWorkCollP14ncclDevWorkP2pii
__PRETTY_FUNCTION__._ZN10PrimitivesI12hip_bfloat168FuncProdIS0_E12FanSymmetricILi1EELi0E11ProtoSimpleILi1ELi1ELi0ELi2ELi0ELi0EELi0ELb0ELi0ELi1ELi0EEC2EiiPKiS9_PKvPvmhhhP15ncclDevWorkCollP14ncclDevWorkP2pii:
	.asciz	"Primitives<hip_bfloat16, FuncProd<hip_bfloat16>, FanSymmetric<1>, 0, ProtoSimple<1, 1, 0, 2>, 0, false, 0, 1>::Primitives(int, int, const int *, const int *, const void *, void *, uint64_t, uint8_t, uint8_t, uint8_t, struct ncclDevWorkColl *, struct ncclDevWorkP2p *, int, int) [T = hip_bfloat16, RedOp = FuncProd<hip_bfloat16>, Fan = FanSymmetric<1>, Direct = 0, Proto = ProtoSimple<1, 1, 0, 2>, P2p = 0, isNetOffload = false, Metadata = 0, Pipeline = 1, useAcc = 0]"
	.size	__PRETTY_FUNCTION__._ZN10PrimitivesI12hip_bfloat168FuncProdIS0_E12FanSymmetricILi1EELi0E11ProtoSimpleILi1ELi1ELi0ELi2ELi0ELi0EELi0ELb0ELi0ELi1ELi0EEC2EiiPKiS9_PKvPvmhhhP15ncclDevWorkCollP14ncclDevWorkP2pii, 468

	.type	__PRETTY_FUNCTION__._ZN10PrimitivesI12hip_bfloat168FuncProdIS0_E12FanSymmetricILi1EELi0E11ProtoSimpleILi1ELi1ELi0ELi4ELi0ELi0EELi0ELb0ELi0ELi0ELi0EEC2EiiPKiS9_PKvPvmhhhP15ncclDevWorkCollP14ncclDevWorkP2pii,@object ; @__PRETTY_FUNCTION__._ZN10PrimitivesI12hip_bfloat168FuncProdIS0_E12FanSymmetricILi1EELi0E11ProtoSimpleILi1ELi1ELi0ELi4ELi0ELi0EELi0ELb0ELi0ELi0ELi0EEC2EiiPKiS9_PKvPvmhhhP15ncclDevWorkCollP14ncclDevWorkP2pii
__PRETTY_FUNCTION__._ZN10PrimitivesI12hip_bfloat168FuncProdIS0_E12FanSymmetricILi1EELi0E11ProtoSimpleILi1ELi1ELi0ELi4ELi0ELi0EELi0ELb0ELi0ELi0ELi0EEC2EiiPKiS9_PKvPvmhhhP15ncclDevWorkCollP14ncclDevWorkP2pii:
	.asciz	"Primitives<hip_bfloat16, FuncProd<hip_bfloat16>, FanSymmetric<1>, 0, ProtoSimple<1, 1, 0, 4>, 0>::Primitives(int, int, const int *, const int *, const void *, void *, uint64_t, uint8_t, uint8_t, uint8_t, struct ncclDevWorkColl *, struct ncclDevWorkP2p *, int, int) [T = hip_bfloat16, RedOp = FuncProd<hip_bfloat16>, Fan = FanSymmetric<1>, Direct = 0, Proto = ProtoSimple<1, 1, 0, 4>, P2p = 0, isNetOffload = false, Metadata = 0, Pipeline = 0, useAcc = 0]"
	.size	__PRETTY_FUNCTION__._ZN10PrimitivesI12hip_bfloat168FuncProdIS0_E12FanSymmetricILi1EELi0E11ProtoSimpleILi1ELi1ELi0ELi4ELi0ELi0EELi0ELb0ELi0ELi0ELi0EEC2EiiPKiS9_PKvPvmhhhP15ncclDevWorkCollP14ncclDevWorkP2pii, 455

	.type	__PRETTY_FUNCTION__._ZN10PrimitivesI12hip_bfloat168FuncProdIS0_E12FanSymmetricILi1EELi0E11ProtoSimpleILi1ELi1ELi0ELi4ELi0ELi0EELi0ELb0ELi0ELi1ELi0EEC2EiiPKiS9_PKvPvmhhhP15ncclDevWorkCollP14ncclDevWorkP2pii,@object ; @__PRETTY_FUNCTION__._ZN10PrimitivesI12hip_bfloat168FuncProdIS0_E12FanSymmetricILi1EELi0E11ProtoSimpleILi1ELi1ELi0ELi4ELi0ELi0EELi0ELb0ELi0ELi1ELi0EEC2EiiPKiS9_PKvPvmhhhP15ncclDevWorkCollP14ncclDevWorkP2pii
__PRETTY_FUNCTION__._ZN10PrimitivesI12hip_bfloat168FuncProdIS0_E12FanSymmetricILi1EELi0E11ProtoSimpleILi1ELi1ELi0ELi4ELi0ELi0EELi0ELb0ELi0ELi1ELi0EEC2EiiPKiS9_PKvPvmhhhP15ncclDevWorkCollP14ncclDevWorkP2pii:
	.asciz	"Primitives<hip_bfloat16, FuncProd<hip_bfloat16>, FanSymmetric<1>, 0, ProtoSimple<1, 1, 0, 4>, 0, false, 0, 1>::Primitives(int, int, const int *, const int *, const void *, void *, uint64_t, uint8_t, uint8_t, uint8_t, struct ncclDevWorkColl *, struct ncclDevWorkP2p *, int, int) [T = hip_bfloat16, RedOp = FuncProd<hip_bfloat16>, Fan = FanSymmetric<1>, Direct = 0, Proto = ProtoSimple<1, 1, 0, 4>, P2p = 0, isNetOffload = false, Metadata = 0, Pipeline = 1, useAcc = 0]"
	.size	__PRETTY_FUNCTION__._ZN10PrimitivesI12hip_bfloat168FuncProdIS0_E12FanSymmetricILi1EELi0E11ProtoSimpleILi1ELi1ELi0ELi4ELi0ELi0EELi0ELb0ELi0ELi1ELi0EEC2EiiPKiS9_PKvPvmhhhP15ncclDevWorkCollP14ncclDevWorkP2pii, 468

	.type	__hip_cuid_4f0c4806300de739,@object ; @__hip_cuid_4f0c4806300de739
	.section	.bss,"aw",@nobits
	.globl	__hip_cuid_4f0c4806300de739
__hip_cuid_4f0c4806300de739:
	.byte	0                               ; 0x0
	.size	__hip_cuid_4f0c4806300de739, 1

	.ident	"AMD clang version 19.0.0git (https://github.com/RadeonOpenCompute/llvm-project roc-6.4.0 25133 c7fe45cf4b819c5991fe208aaa96edf142730f1d)"
	.section	".note.GNU-stack","",@progbits
	.addrsig
	.addrsig_sym _Z46ncclDevFunc_Reduce_RING_SIMPLE_Prod_bf16_0_0_1v
	.addrsig_sym _Z46ncclDevFunc_Reduce_RING_SIMPLE_Prod_bf16_0_1_1v
	.addrsig_sym _Z46ncclDevFunc_Reduce_RING_SIMPLE_Prod_bf16_0_0_2v
	.addrsig_sym _Z46ncclDevFunc_Reduce_RING_SIMPLE_Prod_bf16_0_1_2v
	.addrsig_sym _Z46ncclDevFunc_Reduce_RING_SIMPLE_Prod_bf16_0_0_4v
	.addrsig_sym _Z46ncclDevFunc_Reduce_RING_SIMPLE_Prod_bf16_0_1_4v
	.addrsig_sym ncclShmem
	.addrsig_sym __hip_cuid_4f0c4806300de739
	.amdgpu_metadata
---
amdhsa.kernels:  []
amdhsa.target:   amdgcn-amd-amdhsa--gfx942
amdhsa.version:
  - 1
  - 2
...

	.end_amdgpu_metadata
